;; amdgpu-corpus repo=ROCm/rocFFT kind=compiled arch=gfx906 opt=O3
	.text
	.amdgcn_target "amdgcn-amd-amdhsa--gfx906"
	.amdhsa_code_object_version 6
	.protected	bluestein_single_fwd_len686_dim1_sp_op_CI_CI ; -- Begin function bluestein_single_fwd_len686_dim1_sp_op_CI_CI
	.globl	bluestein_single_fwd_len686_dim1_sp_op_CI_CI
	.p2align	8
	.type	bluestein_single_fwd_len686_dim1_sp_op_CI_CI,@function
bluestein_single_fwd_len686_dim1_sp_op_CI_CI: ; @bluestein_single_fwd_len686_dim1_sp_op_CI_CI
; %bb.0:
	s_load_dwordx4 s[16:19], s[4:5], 0x28
	v_mul_u32_u24_e32 v1, 0x53a, v0
	v_add_u32_sdwa v64, s6, v1 dst_sel:DWORD dst_unused:UNUSED_PAD src0_sel:DWORD src1_sel:WORD_1
	v_mov_b32_e32 v65, 0
	s_waitcnt lgkmcnt(0)
	v_cmp_gt_u64_e32 vcc, s[16:17], v[64:65]
	s_and_saveexec_b64 s[0:1], vcc
	s_cbranch_execz .LBB0_2
; %bb.1:
	s_load_dwordx4 s[0:3], s[4:5], 0x18
	s_load_dwordx4 s[8:11], s[4:5], 0x0
	v_mov_b32_e32 v2, 49
	v_mul_lo_u16_sdwa v1, v1, v2 dst_sel:DWORD dst_unused:UNUSED_PAD src0_sel:WORD_1 src1_sel:DWORD
	v_sub_u16_e32 v87, v0, v1
	s_waitcnt lgkmcnt(0)
	s_load_dwordx4 s[12:15], s[0:1], 0x0
	v_lshlrev_b32_e32 v86, 3, v87
	global_load_dwordx2 v[67:68], v86, s[8:9]
	global_load_dwordx2 v[65:66], v86, s[8:9] offset:784
	global_load_dwordx2 v[62:63], v86, s[8:9] offset:1568
	;; [unrolled: 1-line block ×3, first 2 shown]
	s_waitcnt lgkmcnt(0)
	v_mad_u64_u32 v[0:1], s[0:1], s14, v64, 0
	v_mad_u64_u32 v[2:3], s[0:1], s12, v87, 0
	v_mov_b32_e32 v85, 0xffffef28
	s_movk_i32 s14, 0x1000
	v_mad_u64_u32 v[4:5], s[0:1], s15, v64, v[1:2]
	v_add_u32_e32 v88, 0x1000, v86
	v_add_u32_e32 v89, 0xc00, v86
	v_mad_u64_u32 v[5:6], s[0:1], s13, v87, v[3:4]
	v_mov_b32_e32 v1, v4
	v_lshlrev_b64 v[0:1], 3, v[0:1]
	v_mov_b32_e32 v6, s19
	v_mov_b32_e32 v3, v5
	v_add_co_u32_e32 v4, vcc, s18, v0
	v_addc_co_u32_e32 v5, vcc, v6, v1, vcc
	v_lshlrev_b64 v[0:1], 3, v[2:3]
	s_mul_i32 s0, s13, 0x310
	v_add_co_u32_e32 v0, vcc, v4, v0
	v_addc_co_u32_e32 v1, vcc, v5, v1, vcc
	v_mov_b32_e32 v4, s9
	v_add_co_u32_e32 v91, vcc, s8, v86
	s_mul_hi_u32 s1, s12, 0x310
	v_addc_co_u32_e32 v92, vcc, 0, v4, vcc
	s_add_i32 s0, s1, s0
	s_mul_i32 s1, s12, 0x310
	global_load_dwordx2 v[2:3], v[0:1], off
	v_mov_b32_e32 v4, s0
	v_add_co_u32_e32 v0, vcc, s1, v0
	v_addc_co_u32_e32 v1, vcc, v1, v4, vcc
	v_mov_b32_e32 v5, s0
	v_add_co_u32_e32 v4, vcc, s1, v0
	v_addc_co_u32_e32 v5, vcc, v1, v5, vcc
	;; [unrolled: 3-line block ×4, first 2 shown]
	global_load_dwordx2 v[10:11], v[0:1], off
	global_load_dwordx2 v[12:13], v[4:5], off
	;; [unrolled: 1-line block ×4, first 2 shown]
	global_load_dwordx2 v[58:59], v86, s[8:9] offset:3136
	v_mov_b32_e32 v1, s0
	v_add_co_u32_e32 v0, vcc, s1, v8
	v_addc_co_u32_e32 v1, vcc, v9, v1, vcc
	global_load_dwordx2 v[4:5], v[0:1], off
	global_load_dwordx2 v[56:57], v86, s[8:9] offset:3920
	v_mov_b32_e32 v6, s0
	v_add_co_u32_e32 v0, vcc, s1, v0
	v_addc_co_u32_e32 v1, vcc, v1, v6, vcc
	global_load_dwordx2 v[6:7], v[0:1], off
	v_mad_u64_u32 v[0:1], s[6:7], s12, v85, v[0:1]
	v_add_co_u32_e32 v79, vcc, s14, v91
	v_addc_co_u32_e32 v80, vcc, 0, v92, vcc
	s_mul_i32 s6, s13, 0xffffef28
	global_load_dwordx2 v[54:55], v[79:80], off offset:608
	s_sub_i32 s6, s6, s12
	v_add_u32_e32 v1, s6, v1
	global_load_dwordx2 v[8:9], v[0:1], off
	global_load_dwordx2 v[48:49], v86, s[8:9] offset:1176
	global_load_dwordx2 v[52:53], v86, s[8:9] offset:392
	v_mov_b32_e32 v18, s0
	v_add_co_u32_e32 v0, vcc, s1, v0
	v_addc_co_u32_e32 v1, vcc, v1, v18, vcc
	global_load_dwordx2 v[18:19], v[0:1], off
	v_mov_b32_e32 v20, s0
	v_add_co_u32_e32 v0, vcc, s1, v0
	v_addc_co_u32_e32 v1, vcc, v1, v20, vcc
	global_load_dwordx2 v[20:21], v[0:1], off
	global_load_dwordx2 v[44:45], v86, s[8:9] offset:2744
	global_load_dwordx2 v[50:51], v86, s[8:9] offset:1960
	v_mov_b32_e32 v22, s0
	v_add_co_u32_e32 v0, vcc, s1, v0
	v_addc_co_u32_e32 v1, vcc, v1, v22, vcc
	global_load_dwordx2 v[22:23], v[0:1], off
	v_mov_b32_e32 v24, s0
	v_add_co_u32_e32 v0, vcc, s1, v0
	v_addc_co_u32_e32 v1, vcc, v1, v24, vcc
	global_load_dwordx2 v[24:25], v[0:1], off
	global_load_dwordx2 v[42:43], v86, s[8:9] offset:3528
	v_mov_b32_e32 v26, s0
	v_add_co_u32_e32 v0, vcc, s1, v0
	v_addc_co_u32_e32 v1, vcc, v1, v26, vcc
	global_load_dwordx2 v[26:27], v[0:1], off
	global_load_dwordx2 v[40:41], v[79:80], off offset:1000
	global_load_dwordx2 v[46:47], v[79:80], off offset:216
	v_mov_b32_e32 v28, s0
	v_add_co_u32_e32 v0, vcc, s1, v0
	v_addc_co_u32_e32 v1, vcc, v1, v28, vcc
	global_load_dwordx2 v[0:1], v[0:1], off
	s_waitcnt vmcnt(23)
	v_mul_f32_e32 v28, v3, v68
	v_fmac_f32_e32 v28, v2, v67
	v_mul_f32_e32 v2, v2, v68
	v_fma_f32 v29, v3, v67, -v2
	s_load_dwordx4 s[0:3], s[2:3], 0x0
	v_add_u32_e32 v90, 0x800, v86
	s_mov_b32 s6, 0x3f3bfb3b
	s_mov_b32 s7, 0xbf3bfb3b
	;; [unrolled: 1-line block ×3, first 2 shown]
	s_load_dwordx2 s[4:5], s[4:5], 0x38
	s_waitcnt vmcnt(22)
	v_mul_f32_e32 v2, v11, v66
	v_mul_f32_e32 v3, v10, v66
	v_fmac_f32_e32 v2, v10, v65
	v_fma_f32 v3, v11, v65, -v3
	ds_write_b64 v86, v[2:3] offset:784
	s_waitcnt vmcnt(21)
	v_mul_f32_e32 v2, v13, v63
	v_mul_f32_e32 v3, v12, v63
	v_fmac_f32_e32 v2, v12, v62
	v_fma_f32 v3, v13, v62, -v3
	ds_write_b64 v86, v[2:3] offset:1568
	;; [unrolled: 6-line block ×6, first 2 shown]
	s_waitcnt vmcnt(11)
	v_mul_f32_e32 v3, v9, v53
	v_mul_f32_e32 v4, v8, v53
	v_fmac_f32_e32 v3, v8, v52
	v_fma_f32 v4, v9, v52, -v4
	ds_write2_b64 v86, v[28:29], v[3:4] offset1:49
	s_waitcnt vmcnt(10)
	v_mul_f32_e32 v3, v19, v49
	v_mul_f32_e32 v4, v18, v49
	v_fmac_f32_e32 v3, v18, v48
	v_fma_f32 v4, v19, v48, -v4
	ds_write_b64 v86, v[3:4] offset:1176
	s_waitcnt vmcnt(7)
	v_mul_f32_e32 v3, v21, v51
	v_mul_f32_e32 v4, v20, v51
	v_fmac_f32_e32 v3, v20, v50
	v_fma_f32 v4, v21, v50, -v4
	ds_write_b64 v86, v[3:4] offset:1960
	s_waitcnt vmcnt(6)
	v_mul_f32_e32 v3, v23, v45
	v_mul_f32_e32 v4, v22, v45
	v_fmac_f32_e32 v3, v22, v44
	v_fma_f32 v4, v23, v44, -v4
	ds_write_b64 v86, v[3:4] offset:2744
	v_add_co_u32_e32 v2, vcc, 49, v87
	s_waitcnt vmcnt(4)
	v_mul_f32_e32 v3, v25, v43
	v_mul_f32_e32 v4, v24, v43
	v_fmac_f32_e32 v3, v24, v42
	v_fma_f32 v4, v25, v42, -v4
	ds_write_b64 v86, v[3:4] offset:3528
	s_waitcnt vmcnt(1)
	v_mul_f32_e32 v3, v27, v47
	v_mul_f32_e32 v4, v26, v47
	v_fmac_f32_e32 v3, v26, v46
	v_fma_f32 v4, v27, v46, -v4
	ds_write_b64 v86, v[3:4] offset:4312
	s_waitcnt vmcnt(0)
	v_mul_f32_e32 v3, v1, v41
	v_fmac_f32_e32 v3, v0, v40
	v_mul_f32_e32 v0, v0, v41
	v_fma_f32 v4, v1, v40, -v0
	ds_write_b64 v86, v[3:4] offset:5096
	s_waitcnt lgkmcnt(0)
	; wave barrier
	s_waitcnt lgkmcnt(0)
	ds_read2_b64 v[3:6], v86 offset1:49
	ds_read2_b64 v[7:10], v86 offset0:98 offset1:147
	ds_read2_b64 v[11:14], v86 offset0:196 offset1:245
	;; [unrolled: 1-line block ×6, first 2 shown]
	s_waitcnt lgkmcnt(0)
	v_add_f32_e32 v0, v7, v15
	v_sub_f32_e32 v7, v7, v15
	v_add_f32_e32 v1, v8, v16
	v_add_f32_e32 v15, v11, v27
	v_sub_f32_e32 v8, v8, v16
	v_add_f32_e32 v16, v12, v28
	v_sub_f32_e32 v11, v11, v27
	;; [unrolled: 2-line block ×6, first 2 shown]
	v_sub_f32_e32 v33, v0, v27
	v_add_f32_e32 v0, v19, v11
	v_add_f32_e32 v23, v27, v23
	v_sub_f32_e32 v32, v16, v1
	v_sub_f32_e32 v34, v1, v28
	v_add_f32_e32 v1, v20, v12
	v_sub_f32_e32 v35, v19, v11
	v_sub_f32_e32 v19, v7, v19
	v_sub_f32_e32 v11, v11, v7
	v_add_f32_e32 v24, v28, v24
	v_add_f32_e32 v7, v0, v7
	;; [unrolled: 1-line block ×3, first 2 shown]
	v_sub_f32_e32 v15, v27, v15
	v_sub_f32_e32 v16, v28, v16
	;; [unrolled: 1-line block ×5, first 2 shown]
	v_add_f32_e32 v8, v1, v8
	v_add_f32_e32 v1, v4, v24
	v_mov_b32_e32 v37, v0
	v_mul_f32_e32 v27, 0x3d64c772, v15
	v_mul_f32_e32 v28, 0x3d64c772, v16
	v_fmac_f32_e32 v37, 0xbf955555, v23
	v_mov_b32_e32 v23, v1
	v_mul_f32_e32 v3, 0x3f4a47b2, v33
	v_mul_f32_e32 v4, 0x3f4a47b2, v34
	;; [unrolled: 1-line block ×4, first 2 shown]
	v_fmac_f32_e32 v23, 0xbf955555, v24
	v_fma_f32 v24, v31, s6, -v27
	v_fma_f32 v27, v32, s6, -v28
	v_mul_f32_e32 v33, 0xbf08b237, v35
	v_mul_f32_e32 v35, 0xbf5ff5aa, v11
	v_fma_f32 v28, v31, s7, -v3
	v_fma_f32 v31, v12, s8, -v34
	v_fmac_f32_e32 v34, 0x3eae86e6, v20
	v_fmac_f32_e32 v36, 0xbeae86e6, v20
	v_add_f32_e32 v20, v27, v23
	v_add_f32_e32 v27, v9, v17
	v_sub_f32_e32 v9, v9, v17
	v_add_f32_e32 v17, v13, v29
	v_fmac_f32_e32 v3, 0x3d64c772, v15
	v_fma_f32 v15, v32, s7, -v4
	v_fmac_f32_e32 v4, 0x3d64c772, v16
	v_fma_f32 v16, v11, s8, -v33
	v_fmac_f32_e32 v33, 0x3eae86e6, v19
	v_fmac_f32_e32 v35, 0xbeae86e6, v19
	v_add_f32_e32 v19, v24, v37
	v_add_f32_e32 v24, v28, v37
	;; [unrolled: 1-line block ×3, first 2 shown]
	v_sub_f32_e32 v10, v10, v18
	v_add_f32_e32 v18, v14, v30
	v_sub_f32_e32 v13, v13, v29
	v_add_f32_e32 v29, v21, v25
	;; [unrolled: 2-line block ×5, first 2 shown]
	v_add_f32_e32 v25, v29, v25
	v_add_f32_e32 v32, v3, v37
	;; [unrolled: 1-line block ×4, first 2 shown]
	v_fmac_f32_e32 v33, 0x3ee1c552, v7
	v_fmac_f32_e32 v34, 0x3ee1c552, v8
	;; [unrolled: 1-line block ×6, first 2 shown]
	v_add_f32_e32 v26, v30, v26
	v_add_f32_e32 v5, v5, v25
	;; [unrolled: 1-line block ×3, first 2 shown]
	v_sub_f32_e32 v4, v38, v33
	v_add_f32_e32 v7, v36, v24
	v_sub_f32_e32 v8, v23, v35
	v_sub_f32_e32 v11, v19, v31
	v_add_f32_e32 v12, v16, v20
	v_add_f32_e32 v15, v31, v19
	v_sub_f32_e32 v16, v20, v16
	v_sub_f32_e32 v19, v24, v36
	v_add_f32_e32 v20, v35, v23
	v_sub_f32_e32 v23, v32, v34
	v_add_f32_e32 v24, v33, v38
	v_sub_f32_e32 v31, v17, v27
	v_sub_f32_e32 v32, v18, v28
	;; [unrolled: 1-line block ×6, first 2 shown]
	v_add_f32_e32 v33, v21, v13
	v_add_f32_e32 v34, v22, v14
	v_sub_f32_e32 v35, v21, v13
	v_sub_f32_e32 v36, v22, v14
	;; [unrolled: 1-line block ×4, first 2 shown]
	v_add_f32_e32 v6, v6, v26
	v_mov_b32_e32 v37, v5
	v_sub_f32_e32 v21, v9, v21
	v_sub_f32_e32 v22, v10, v22
	v_add_f32_e32 v9, v33, v9
	v_add_f32_e32 v10, v34, v10
	v_mul_f32_e32 v27, 0x3f4a47b2, v27
	v_mul_f32_e32 v28, 0x3f4a47b2, v28
	v_mul_f32_e32 v29, 0x3d64c772, v17
	v_mul_f32_e32 v30, 0x3d64c772, v18
	v_mul_f32_e32 v33, 0xbf08b237, v35
	v_mul_f32_e32 v34, 0xbf08b237, v36
	v_mul_f32_e32 v35, 0xbf5ff5aa, v13
	v_mul_f32_e32 v36, 0xbf5ff5aa, v14
	v_fmac_f32_e32 v37, 0xbf955555, v25
	v_mov_b32_e32 v25, v6
	v_fmac_f32_e32 v25, 0xbf955555, v26
	v_fma_f32 v26, v31, s6, -v29
	v_fma_f32 v29, v32, s6, -v30
	;; [unrolled: 1-line block ×3, first 2 shown]
	v_fmac_f32_e32 v27, 0x3d64c772, v17
	v_fma_f32 v17, v32, s7, -v28
	v_fmac_f32_e32 v35, 0xbeae86e6, v21
	v_fmac_f32_e32 v36, 0xbeae86e6, v22
	;; [unrolled: 1-line block ×3, first 2 shown]
	v_fma_f32 v31, v13, s8, -v33
	v_fmac_f32_e32 v33, 0x3eae86e6, v21
	v_fma_f32 v32, v14, s8, -v34
	v_fmac_f32_e32 v34, 0x3eae86e6, v22
	v_add_f32_e32 v21, v26, v37
	v_add_f32_e32 v22, v29, v25
	;; [unrolled: 1-line block ×4, first 2 shown]
	v_fmac_f32_e32 v35, 0x3ee1c552, v9
	v_fmac_f32_e32 v36, 0x3ee1c552, v10
	v_add_f32_e32 v28, v28, v25
	v_add_f32_e32 v13, v36, v26
	v_sub_f32_e32 v14, v29, v35
	v_sub_f32_e32 v25, v26, v36
	v_add_f32_e32 v26, v35, v29
	v_mul_lo_u16_e32 v29, 7, v87
	v_lshlrev_b32_e32 v96, 3, v29
	; wave barrier
	ds_write2_b64 v96, v[0:1], v[3:4] offset1:1
	ds_write2_b64 v96, v[7:8], v[11:12] offset0:2 offset1:3
	ds_write2_b64 v96, v[15:16], v[19:20] offset0:4 offset1:5
	ds_write_b64 v96, v[23:24] offset:48
	v_mul_u32_u24_e32 v0, 7, v2
	v_lshlrev_b32_e32 v94, 3, v0
	v_mov_b32_e32 v0, 37
	v_mul_lo_u16_sdwa v1, v87, v0 dst_sel:DWORD dst_unused:UNUSED_PAD src0_sel:BYTE_0 src1_sel:DWORD
	v_sub_u16_sdwa v3, v87, v1 dst_sel:DWORD dst_unused:UNUSED_PAD src0_sel:DWORD src1_sel:BYTE_1
	v_lshrrev_b16_e32 v3, 1, v3
	v_and_b32_e32 v3, 0x7f, v3
	v_add_u16_sdwa v1, v3, v1 dst_sel:DWORD dst_unused:UNUSED_PAD src0_sel:DWORD src1_sel:BYTE_1
	v_lshrrev_b16_e32 v38, 2, v1
	v_mul_lo_u16_e32 v1, 7, v38
	v_sub_u16_e32 v1, v87, v1
	v_and_b32_e32 v39, 0xff, v1
	v_add_f32_e32 v27, v27, v37
	v_fmac_f32_e32 v33, 0x3ee1c552, v9
	v_fmac_f32_e32 v34, 0x3ee1c552, v10
	v_mul_u32_u24_e32 v1, 6, v39
	v_mul_lo_u16_sdwa v0, v2, v0 dst_sel:DWORD dst_unused:UNUSED_PAD src0_sel:BYTE_0 src1_sel:DWORD
	v_fmac_f32_e32 v31, 0x3ee1c552, v9
	v_fmac_f32_e32 v32, 0x3ee1c552, v10
	v_add_f32_e32 v9, v27, v34
	v_sub_f32_e32 v10, v28, v33
	v_lshlrev_b32_e32 v1, 3, v1
	v_sub_u16_sdwa v3, v2, v0 dst_sel:DWORD dst_unused:UNUSED_PAD src0_sel:DWORD src1_sel:BYTE_1
	v_sub_f32_e32 v17, v21, v32
	v_add_f32_e32 v18, v31, v22
	v_add_f32_e32 v21, v32, v21
	v_sub_f32_e32 v22, v22, v31
	v_sub_f32_e32 v27, v27, v34
	v_add_f32_e32 v28, v33, v28
	ds_write2_b64 v94, v[5:6], v[9:10] offset1:1
	ds_write2_b64 v94, v[13:14], v[17:18] offset0:2 offset1:3
	ds_write2_b64 v94, v[21:22], v[25:26] offset0:4 offset1:5
	ds_write_b64 v94, v[27:28] offset:48
	s_waitcnt lgkmcnt(0)
	; wave barrier
	s_waitcnt lgkmcnt(0)
	global_load_dwordx4 v[8:11], v1, s[10:11]
	global_load_dwordx4 v[4:7], v1, s[10:11] offset:16
	v_lshrrev_b16_e32 v3, 1, v3
	v_and_b32_e32 v3, 0x7f, v3
	v_add_u16_sdwa v0, v3, v0 dst_sel:DWORD dst_unused:UNUSED_PAD src0_sel:DWORD src1_sel:BYTE_1
	v_lshrrev_b16_e32 v36, 2, v0
	v_mul_lo_u16_e32 v0, 7, v36
	v_sub_u16_e32 v0, v2, v0
	v_and_b32_e32 v37, 0xff, v0
	global_load_dwordx4 v[28:31], v1, s[10:11] offset:32
	v_mul_u32_u24_e32 v0, 6, v37
	v_lshlrev_b32_e32 v16, 3, v0
	global_load_dwordx4 v[20:23], v16, s[10:11]
	global_load_dwordx4 v[12:15], v16, s[10:11] offset:16
	global_load_dwordx4 v[0:3], v16, s[10:11] offset:32
	ds_read2_b64 v[69:72], v86 offset1:49
	ds_read2_b64 v[16:19], v86 offset0:98 offset1:147
	ds_read2_b64 v[24:27], v86 offset0:196 offset1:245
	;; [unrolled: 1-line block ×6, first 2 shown]
	v_mul_u32_u24_e32 v38, 49, v38
	s_waitcnt lgkmcnt(0)
	; wave barrier
	s_waitcnt vmcnt(5) lgkmcnt(0)
	v_mul_f32_e32 v77, v17, v9
	v_fma_f32 v77, v16, v8, -v77
	v_mul_f32_e32 v16, v16, v9
	v_fmac_f32_e32 v16, v17, v8
	v_mul_f32_e32 v17, v25, v11
	v_fma_f32 v17, v24, v10, -v17
	v_mul_f32_e32 v24, v24, v11
	v_fmac_f32_e32 v24, v25, v10
	s_waitcnt vmcnt(4)
	v_mul_f32_e32 v25, v33, v5
	v_fma_f32 v25, v32, v4, -v25
	v_mul_f32_e32 v32, v32, v5
	v_fmac_f32_e32 v32, v33, v4
	v_mul_f32_e32 v33, v74, v7
	v_fma_f32 v33, v73, v6, -v33
	v_mul_f32_e32 v73, v73, v7
	v_fmac_f32_e32 v73, v74, v6
	s_waitcnt vmcnt(3)
	v_mul_f32_e32 v74, v82, v29
	s_waitcnt vmcnt(2)
	v_mul_f32_e32 v93, v19, v21
	v_fma_f32 v74, v81, v28, -v74
	v_mul_f32_e32 v78, v81, v29
	v_mul_f32_e32 v81, v98, v31
	v_fma_f32 v93, v18, v20, -v93
	v_mul_f32_e32 v95, v18, v21
	v_mul_f32_e32 v18, v27, v23
	v_fmac_f32_e32 v78, v82, v28
	v_fma_f32 v81, v97, v30, -v81
	v_mul_f32_e32 v82, v97, v31
	v_fma_f32 v97, v26, v22, -v18
	s_waitcnt vmcnt(1)
	v_mul_f32_e32 v18, v35, v13
	v_fma_f32 v101, v34, v12, -v18
	v_mul_f32_e32 v18, v76, v15
	v_fma_f32 v103, v75, v14, -v18
	v_mul_f32_e32 v75, v75, v15
	s_waitcnt vmcnt(0)
	v_mul_f32_e32 v18, v84, v1
	v_fmac_f32_e32 v82, v98, v30
	v_mul_f32_e32 v98, v26, v23
	v_fmac_f32_e32 v75, v76, v14
	v_fma_f32 v76, v83, v0, -v18
	v_mul_f32_e32 v83, v83, v1
	v_mul_f32_e32 v18, v100, v3
	v_fmac_f32_e32 v98, v27, v22
	v_mul_f32_e32 v102, v34, v13
	v_fmac_f32_e32 v83, v84, v0
	v_fma_f32 v84, v99, v2, -v18
	v_add_f32_e32 v18, v77, v81
	v_add_f32_e32 v27, v17, v74
	v_fmac_f32_e32 v95, v19, v20
	v_fmac_f32_e32 v102, v35, v12
	v_add_f32_e32 v19, v16, v82
	v_add_f32_e32 v34, v24, v78
	v_sub_f32_e32 v17, v17, v74
	v_add_f32_e32 v35, v25, v33
	v_add_f32_e32 v74, v32, v73
	v_sub_f32_e32 v25, v33, v25
	v_add_f32_e32 v33, v27, v18
	v_mul_f32_e32 v99, v99, v3
	v_sub_f32_e32 v26, v77, v81
	v_sub_f32_e32 v24, v24, v78
	;; [unrolled: 1-line block ×3, first 2 shown]
	v_add_f32_e32 v73, v34, v19
	v_sub_f32_e32 v78, v34, v19
	v_sub_f32_e32 v81, v74, v34
	v_add_f32_e32 v34, v25, v17
	v_add_f32_e32 v33, v35, v33
	v_fmac_f32_e32 v99, v100, v2
	v_sub_f32_e32 v16, v16, v82
	v_sub_f32_e32 v100, v25, v17
	;; [unrolled: 1-line block ×4, first 2 shown]
	v_add_f32_e32 v73, v74, v73
	v_add_f32_e32 v26, v34, v26
	;; [unrolled: 1-line block ×3, first 2 shown]
	v_sub_f32_e32 v77, v27, v18
	v_sub_f32_e32 v18, v18, v35
	;; [unrolled: 1-line block ×4, first 2 shown]
	v_add_f32_e32 v82, v32, v24
	v_sub_f32_e32 v104, v32, v24
	v_sub_f32_e32 v24, v24, v16
	v_add_f32_e32 v35, v70, v73
	v_mov_b32_e32 v105, v34
	v_sub_f32_e32 v32, v16, v32
	v_add_f32_e32 v16, v82, v16
	v_mul_f32_e32 v18, 0x3f4a47b2, v18
	v_mul_f32_e32 v19, 0x3f4a47b2, v19
	;; [unrolled: 1-line block ×7, first 2 shown]
	v_fmac_f32_e32 v105, 0xbf955555, v33
	v_mov_b32_e32 v33, v35
	v_mul_f32_e32 v70, 0x3d64c772, v81
	v_fmac_f32_e32 v33, 0xbf955555, v73
	v_fma_f32 v69, v77, s6, -v69
	v_fma_f32 v73, v77, s7, -v18
	v_fmac_f32_e32 v18, 0x3d64c772, v27
	v_fma_f32 v27, v78, s7, -v19
	v_fma_f32 v24, v24, s8, -v82
	v_fmac_f32_e32 v100, 0xbeae86e6, v25
	v_fmac_f32_e32 v104, 0xbeae86e6, v32
	v_fma_f32 v70, v78, s6, -v70
	v_fmac_f32_e32 v19, 0x3d64c772, v81
	v_fma_f32 v17, v17, s8, -v74
	v_fmac_f32_e32 v74, 0x3eae86e6, v25
	v_fmac_f32_e32 v82, 0x3eae86e6, v32
	v_add_f32_e32 v77, v18, v105
	v_add_f32_e32 v18, v69, v105
	;; [unrolled: 1-line block ×4, first 2 shown]
	v_fmac_f32_e32 v24, 0x3ee1c552, v16
	v_fmac_f32_e32 v100, 0x3ee1c552, v26
	;; [unrolled: 1-line block ×3, first 2 shown]
	v_add_f32_e32 v78, v19, v33
	v_add_f32_e32 v19, v70, v33
	v_fmac_f32_e32 v74, 0x3ee1c552, v26
	v_fmac_f32_e32 v82, 0x3ee1c552, v16
	;; [unrolled: 1-line block ×3, first 2 shown]
	v_add_f32_e32 v26, v104, v25
	v_sub_f32_e32 v27, v73, v100
	v_sub_f32_e32 v32, v18, v24
	v_add_f32_e32 v18, v24, v18
	v_sub_f32_e32 v24, v25, v104
	v_add_f32_e32 v25, v100, v73
	v_add_f32_e32 v73, v93, v84
	;; [unrolled: 1-line block ×4, first 2 shown]
	v_sub_f32_e32 v70, v78, v74
	v_add_f32_e32 v33, v17, v19
	v_sub_f32_e32 v19, v19, v17
	v_sub_f32_e32 v16, v77, v82
	v_add_f32_e32 v17, v74, v78
	v_add_f32_e32 v74, v95, v99
	v_sub_f32_e32 v77, v93, v84
	v_add_f32_e32 v82, v98, v83
	v_sub_f32_e32 v76, v97, v76
	v_add_f32_e32 v84, v101, v103
	v_add_f32_e32 v97, v81, v73
	v_sub_f32_e32 v78, v95, v99
	v_sub_f32_e32 v83, v98, v83
	v_add_f32_e32 v93, v102, v75
	v_add_f32_e32 v98, v82, v74
	v_sub_f32_e32 v99, v81, v73
	v_sub_f32_e32 v73, v73, v84
	;; [unrolled: 1-line block ×3, first 2 shown]
	v_add_f32_e32 v84, v84, v97
	v_sub_f32_e32 v75, v75, v102
	v_sub_f32_e32 v100, v82, v74
	;; [unrolled: 1-line block ×4, first 2 shown]
	v_add_f32_e32 v93, v93, v98
	v_add_f32_e32 v71, v71, v84
	v_sub_f32_e32 v95, v103, v101
	v_add_f32_e32 v102, v75, v83
	v_sub_f32_e32 v104, v75, v83
	v_add_f32_e32 v72, v72, v93
	v_mov_b32_e32 v105, v71
	v_add_f32_e32 v101, v95, v76
	v_sub_f32_e32 v103, v95, v76
	v_sub_f32_e32 v75, v78, v75
	;; [unrolled: 1-line block ×4, first 2 shown]
	v_add_f32_e32 v78, v102, v78
	v_mul_f32_e32 v97, 0x3d64c772, v81
	v_mul_f32_e32 v102, 0xbf08b237, v104
	v_fmac_f32_e32 v105, 0xbf955555, v84
	v_mov_b32_e32 v84, v72
	v_sub_f32_e32 v95, v77, v95
	v_add_f32_e32 v77, v101, v77
	v_mul_f32_e32 v73, 0x3f4a47b2, v73
	v_mul_f32_e32 v74, 0x3f4a47b2, v74
	;; [unrolled: 1-line block ×6, first 2 shown]
	v_fmac_f32_e32 v84, 0xbf955555, v93
	v_fma_f32 v93, v99, s6, -v97
	v_fma_f32 v83, v83, s8, -v102
	;; [unrolled: 1-line block ×4, first 2 shown]
	v_fmac_f32_e32 v73, 0x3d64c772, v81
	v_fma_f32 v81, v100, s7, -v74
	v_fmac_f32_e32 v74, 0x3d64c772, v82
	v_fma_f32 v82, v76, s8, -v101
	v_fmac_f32_e32 v101, 0x3eae86e6, v95
	v_fmac_f32_e32 v103, 0xbeae86e6, v95
	v_add_f32_e32 v93, v93, v105
	v_fmac_f32_e32 v83, 0x3ee1c552, v78
	v_add_f32_e32 v99, v74, v84
	v_add_f32_e32 v97, v97, v84
	;; [unrolled: 1-line block ×3, first 2 shown]
	v_fmac_f32_e32 v101, 0x3ee1c552, v77
	v_fmac_f32_e32 v82, 0x3ee1c552, v77
	;; [unrolled: 1-line block ×3, first 2 shown]
	v_sub_f32_e32 v77, v93, v83
	v_add_f32_e32 v81, v83, v93
	v_add_lshl_u32 v93, v38, v39, 3
	ds_write2_b64 v93, v[34:35], v[69:70] offset1:7
	ds_write2_b64 v93, v[26:27], v[32:33] offset0:14 offset1:21
	ds_write2_b64 v93, v[18:19], v[24:25] offset0:28 offset1:35
	ds_write_b64 v93, v[16:17] offset:336
	v_mad_u64_u32 v[69:70], s[10:11], v87, 48, s[10:11]
	v_fmac_f32_e32 v102, 0x3eae86e6, v75
	v_fmac_f32_e32 v104, 0xbeae86e6, v75
	v_add_f32_e32 v95, v73, v105
	v_add_f32_e32 v98, v98, v105
	v_fmac_f32_e32 v102, 0x3ee1c552, v78
	v_fmac_f32_e32 v104, 0x3ee1c552, v78
	v_mul_u32_u24_e32 v16, 49, v36
	v_add_f32_e32 v73, v102, v95
	v_sub_f32_e32 v74, v99, v101
	v_add_f32_e32 v75, v104, v98
	v_add_f32_e32 v78, v82, v97
	v_sub_f32_e32 v82, v97, v82
	v_sub_f32_e32 v83, v98, v104
	;; [unrolled: 1-line block ×3, first 2 shown]
	v_add_f32_e32 v98, v101, v99
	v_add_lshl_u32 v95, v16, v37, 3
	v_sub_f32_e32 v76, v84, v103
	v_add_f32_e32 v84, v103, v84
	ds_write2_b64 v95, v[71:72], v[73:74] offset1:7
	ds_write2_b64 v95, v[75:76], v[77:78] offset0:14 offset1:21
	ds_write2_b64 v95, v[81:82], v[83:84] offset0:28 offset1:35
	ds_write_b64 v95, v[97:98] offset:336
	s_waitcnt lgkmcnt(0)
	; wave barrier
	s_waitcnt lgkmcnt(0)
	global_load_dwordx4 v[32:35], v[69:70], off offset:336
	global_load_dwordx4 v[24:27], v[69:70], off offset:352
	;; [unrolled: 1-line block ×3, first 2 shown]
	ds_read2_b64 v[36:39], v86 offset1:49
	ds_read2_b64 v[71:74], v86 offset0:98 offset1:147
	ds_read2_b64 v[75:78], v86 offset0:196 offset1:245
	;; [unrolled: 1-line block ×6, first 2 shown]
	s_waitcnt lgkmcnt(0)
	; wave barrier
	s_waitcnt vmcnt(2) lgkmcnt(0)
	v_mul_f32_e32 v109, v72, v33
	v_fma_f32 v109, v71, v32, -v109
	v_mul_f32_e32 v71, v71, v33
	v_fmac_f32_e32 v71, v72, v32
	v_mul_f32_e32 v72, v76, v35
	v_fma_f32 v72, v75, v34, -v72
	v_mul_f32_e32 v75, v75, v35
	v_fmac_f32_e32 v75, v76, v34
	s_waitcnt vmcnt(1)
	v_mul_f32_e32 v76, v82, v25
	v_fma_f32 v76, v81, v24, -v76
	v_mul_f32_e32 v81, v81, v25
	v_fmac_f32_e32 v81, v82, v24
	v_mul_f32_e32 v82, v98, v27
	v_fma_f32 v82, v97, v26, -v82
	v_mul_f32_e32 v97, v97, v27
	v_fmac_f32_e32 v97, v98, v26
	s_waitcnt vmcnt(0)
	v_mul_f32_e32 v98, v102, v17
	v_fma_f32 v98, v101, v16, -v98
	v_mul_f32_e32 v101, v101, v17
	v_fmac_f32_e32 v101, v102, v16
	v_mul_f32_e32 v102, v106, v19
	v_fma_f32 v102, v105, v18, -v102
	v_mul_f32_e32 v105, v105, v19
	v_fmac_f32_e32 v105, v106, v18
	v_mul_f32_e32 v106, v74, v33
	v_fma_f32 v106, v73, v32, -v106
	v_mul_f32_e32 v110, v73, v33
	v_mul_f32_e32 v73, v78, v35
	v_fma_f32 v111, v77, v34, -v73
	v_mul_f32_e32 v73, v84, v25
	v_fma_f32 v113, v83, v24, -v73
	;; [unrolled: 2-line block ×3, first 2 shown]
	v_mul_f32_e32 v99, v99, v27
	v_mul_f32_e32 v73, v104, v17
	;; [unrolled: 1-line block ×3, first 2 shown]
	v_fmac_f32_e32 v99, v100, v26
	v_fma_f32 v100, v103, v16, -v73
	v_mul_f32_e32 v103, v103, v17
	v_mul_f32_e32 v73, v108, v19
	v_fmac_f32_e32 v112, v78, v34
	v_mul_f32_e32 v114, v83, v25
	v_fmac_f32_e32 v103, v104, v16
	v_fma_f32 v104, v107, v18, -v73
	v_add_f32_e32 v73, v109, v102
	v_add_f32_e32 v78, v72, v98
	v_fmac_f32_e32 v110, v74, v32
	v_fmac_f32_e32 v114, v84, v24
	v_add_f32_e32 v74, v71, v105
	v_add_f32_e32 v83, v75, v101
	v_add_f32_e32 v84, v76, v82
	v_sub_f32_e32 v76, v82, v76
	v_add_f32_e32 v82, v78, v73
	v_mul_f32_e32 v107, v107, v19
	v_sub_f32_e32 v71, v71, v105
	v_sub_f32_e32 v72, v72, v98
	;; [unrolled: 1-line block ×3, first 2 shown]
	v_add_f32_e32 v98, v81, v97
	v_sub_f32_e32 v81, v97, v81
	v_add_f32_e32 v97, v83, v74
	v_add_f32_e32 v82, v84, v82
	v_fmac_f32_e32 v107, v108, v18
	v_sub_f32_e32 v77, v109, v102
	v_sub_f32_e32 v101, v78, v73
	;; [unrolled: 1-line block ×4, first 2 shown]
	v_add_f32_e32 v108, v81, v75
	v_sub_f32_e32 v109, v76, v72
	v_sub_f32_e32 v116, v81, v75
	;; [unrolled: 1-line block ×3, first 2 shown]
	v_add_f32_e32 v84, v98, v97
	v_add_f32_e32 v75, v36, v82
	v_sub_f32_e32 v102, v83, v74
	v_sub_f32_e32 v74, v74, v98
	v_add_f32_e32 v105, v76, v72
	v_sub_f32_e32 v117, v77, v76
	v_add_f32_e32 v76, v37, v84
	v_mul_f32_e32 v97, 0xbf08b237, v109
	v_mov_b32_e32 v109, v75
	v_sub_f32_e32 v83, v98, v83
	v_sub_f32_e32 v72, v72, v77
	v_mul_f32_e32 v36, 0x3f4a47b2, v73
	v_mul_f32_e32 v37, 0x3f4a47b2, v74
	;; [unrolled: 1-line block ×4, first 2 shown]
	v_fmac_f32_e32 v109, 0xbf955555, v82
	v_mov_b32_e32 v82, v76
	v_sub_f32_e32 v81, v71, v81
	v_add_f32_e32 v77, v105, v77
	v_add_f32_e32 v71, v108, v71
	v_mul_f32_e32 v74, 0x3d64c772, v83
	v_mul_f32_e32 v105, 0xbf5ff5aa, v72
	v_mul_f32_e32 v108, 0xbf5ff5aa, v118
	v_fmac_f32_e32 v82, 0xbf955555, v84
	v_fma_f32 v73, v101, s6, -v73
	v_fma_f32 v84, v101, s7, -v36
	v_fmac_f32_e32 v36, 0x3d64c772, v78
	v_fma_f32 v78, v102, s7, -v37
	v_fmac_f32_e32 v37, 0x3d64c772, v83
	;; [unrolled: 2-line block ×3, first 2 shown]
	v_fma_f32 v101, v118, s8, -v98
	v_fma_f32 v74, v102, s6, -v74
	v_fmac_f32_e32 v98, 0x3eae86e6, v81
	v_fmac_f32_e32 v105, 0xbeae86e6, v117
	;; [unrolled: 1-line block ×3, first 2 shown]
	v_add_f32_e32 v37, v37, v82
	v_add_f32_e32 v73, v73, v109
	v_fmac_f32_e32 v97, 0x3ee1c552, v77
	v_fmac_f32_e32 v101, 0x3ee1c552, v71
	v_add_f32_e32 v36, v36, v109
	v_add_f32_e32 v74, v74, v82
	;; [unrolled: 1-line block ×4, first 2 shown]
	v_fmac_f32_e32 v98, 0x3ee1c552, v71
	v_fmac_f32_e32 v72, 0x3ee1c552, v77
	;; [unrolled: 1-line block ×4, first 2 shown]
	v_sub_f32_e32 v78, v37, v97
	v_sub_f32_e32 v83, v73, v101
	v_add_f32_e32 v71, v101, v73
	v_add_f32_e32 v37, v97, v37
	;; [unrolled: 1-line block ×3, first 2 shown]
	v_sub_f32_e32 v101, v106, v104
	v_add_f32_e32 v104, v111, v100
	v_add_f32_e32 v77, v98, v36
	v_sub_f32_e32 v82, v109, v105
	v_add_f32_e32 v84, v72, v74
	v_sub_f32_e32 v72, v74, v72
	v_add_f32_e32 v74, v105, v109
	v_sub_f32_e32 v36, v36, v98
	v_add_f32_e32 v98, v110, v107
	v_add_f32_e32 v105, v112, v103
	;; [unrolled: 1-line block ×5, first 2 shown]
	v_sub_f32_e32 v73, v102, v108
	v_sub_f32_e32 v102, v110, v107
	;; [unrolled: 1-line block ×3, first 2 shown]
	v_add_f32_e32 v107, v114, v99
	v_add_f32_e32 v110, v105, v98
	v_sub_f32_e32 v111, v104, v97
	v_sub_f32_e32 v97, v97, v106
	;; [unrolled: 1-line block ×3, first 2 shown]
	v_add_f32_e32 v106, v106, v109
	v_sub_f32_e32 v103, v112, v103
	v_sub_f32_e32 v108, v115, v113
	;; [unrolled: 1-line block ×6, first 2 shown]
	v_add_f32_e32 v107, v107, v110
	v_add_f32_e32 v38, v38, v106
	;; [unrolled: 1-line block ×4, first 2 shown]
	v_sub_f32_e32 v115, v108, v100
	v_sub_f32_e32 v116, v99, v103
	;; [unrolled: 1-line block ×4, first 2 shown]
	v_add_f32_e32 v39, v39, v107
	v_mov_b32_e32 v117, v38
	v_sub_f32_e32 v108, v101, v108
	v_sub_f32_e32 v99, v102, v99
	v_add_f32_e32 v101, v113, v101
	v_add_f32_e32 v102, v114, v102
	v_mul_f32_e32 v97, 0x3f4a47b2, v97
	v_mul_f32_e32 v98, 0x3f4a47b2, v98
	;; [unrolled: 1-line block ×8, first 2 shown]
	v_fmac_f32_e32 v117, 0xbf955555, v106
	v_mov_b32_e32 v106, v39
	v_fmac_f32_e32 v106, 0xbf955555, v107
	v_fma_f32 v107, v111, s6, -v109
	v_fma_f32 v109, v112, s6, -v110
	;; [unrolled: 1-line block ×3, first 2 shown]
	v_fmac_f32_e32 v97, 0x3d64c772, v104
	v_fma_f32 v104, v112, s7, -v98
	v_fmac_f32_e32 v98, 0x3d64c772, v105
	v_fma_f32 v105, v100, s8, -v113
	;; [unrolled: 2-line block ×3, first 2 shown]
	v_fmac_f32_e32 v114, 0x3eae86e6, v99
	v_fmac_f32_e32 v115, 0xbeae86e6, v108
	;; [unrolled: 1-line block ×3, first 2 shown]
	v_add_f32_e32 v108, v97, v117
	v_add_f32_e32 v111, v98, v106
	;; [unrolled: 1-line block ×6, first 2 shown]
	v_fmac_f32_e32 v113, 0x3ee1c552, v101
	v_fmac_f32_e32 v114, 0x3ee1c552, v102
	;; [unrolled: 1-line block ×6, first 2 shown]
	v_add_f32_e32 v97, v114, v108
	v_sub_f32_e32 v98, v111, v113
	v_add_f32_e32 v99, v116, v110
	v_sub_f32_e32 v100, v106, v115
	v_sub_f32_e32 v101, v107, v103
	v_add_f32_e32 v102, v105, v109
	v_add_f32_e32 v103, v103, v107
	v_sub_f32_e32 v104, v109, v105
	v_sub_f32_e32 v105, v110, v116
	v_add_f32_e32 v106, v115, v106
	v_sub_f32_e32 v107, v108, v114
	v_add_f32_e32 v108, v113, v111
	ds_write2_b64 v86, v[75:76], v[77:78] offset1:49
	ds_write2_b64 v86, v[81:82], v[83:84] offset0:98 offset1:147
	ds_write2_b64 v86, v[71:72], v[73:74] offset0:196 offset1:245
	;; [unrolled: 1-line block ×6, first 2 shown]
	v_mul_i32_i24_e32 v36, 0xffffffd8, v87
	v_mul_hi_i32_i24_e32 v37, 0xffffffd8, v87
	v_add_co_u32_e32 v36, vcc, v69, v36
	v_addc_co_u32_e32 v37, vcc, v70, v37, vcc
	s_waitcnt lgkmcnt(0)
	; wave barrier
	s_waitcnt lgkmcnt(0)
	global_load_dwordx2 v[69:70], v[36:37], off offset:2688
	global_load_dwordx2 v[71:72], v[36:37], off offset:3080
	;; [unrolled: 1-line block ×4, first 2 shown]
	v_add_co_u32_e32 v36, vcc, s14, v36
	v_addc_co_u32_e32 v37, vcc, 0, v37, vcc
	global_load_dwordx2 v[77:78], v[36:37], off offset:160
	global_load_dwordx2 v[81:82], v[36:37], off offset:552
	;; [unrolled: 1-line block ×3, first 2 shown]
	ds_read2_b64 v[36:39], v86 offset1:49
	ds_read2_b64 v[97:100], v90 offset0:38 offset1:87
	ds_read2_b64 v[101:104], v90 offset0:136 offset1:185
	;; [unrolled: 1-line block ×5, first 2 shown]
	s_movk_i32 s8, 0x1570
	s_waitcnt vmcnt(6) lgkmcnt(4)
	v_mul_f32_e32 v117, v100, v70
	v_fma_f32 v117, v99, v69, -v117
	v_mul_f32_e32 v118, v99, v70
	s_waitcnt vmcnt(5) lgkmcnt(3)
	v_mul_f32_e32 v99, v102, v72
	v_fma_f32 v119, v101, v71, -v99
	s_waitcnt vmcnt(4)
	v_mul_f32_e32 v99, v104, v76
	v_fma_f32 v121, v103, v75, -v99
	s_waitcnt vmcnt(3) lgkmcnt(1)
	v_mul_f32_e32 v99, v110, v74
	v_fma_f32 v123, v109, v73, -v99
	s_waitcnt vmcnt(2)
	v_mul_f32_e32 v99, v112, v78
	v_mul_f32_e32 v120, v101, v72
	v_fma_f32 v125, v111, v77, -v99
	s_waitcnt vmcnt(1) lgkmcnt(0)
	v_mul_f32_e32 v99, v114, v82
	v_fmac_f32_e32 v118, v100, v69
	v_fmac_f32_e32 v120, v102, v71
	v_mul_f32_e32 v122, v103, v76
	v_fma_f32 v127, v113, v81, -v99
	s_waitcnt vmcnt(0)
	v_mul_f32_e32 v99, v116, v84
	v_fmac_f32_e32 v122, v104, v75
	v_mul_f32_e32 v124, v109, v74
	v_fma_f32 v129, v115, v83, -v99
	v_sub_f32_e32 v99, v36, v117
	v_sub_f32_e32 v100, v37, v118
	;; [unrolled: 1-line block ×4, first 2 shown]
	v_fmac_f32_e32 v124, v110, v73
	v_fma_f32 v101, v36, 2.0, -v99
	v_fma_f32 v102, v37, 2.0, -v100
	;; [unrolled: 1-line block ×4, first 2 shown]
	ds_read2_b64 v[36:39], v86 offset0:196 offset1:245
	v_mul_f32_e32 v126, v111, v78
	v_mul_f32_e32 v128, v113, v82
	;; [unrolled: 1-line block ×3, first 2 shown]
	v_fmac_f32_e32 v126, v112, v77
	v_fmac_f32_e32 v128, v114, v81
	;; [unrolled: 1-line block ×3, first 2 shown]
	v_sub_f32_e32 v111, v105, v121
	v_sub_f32_e32 v112, v106, v122
	;; [unrolled: 1-line block ×4, first 2 shown]
	s_waitcnt lgkmcnt(0)
	v_sub_f32_e32 v115, v36, v125
	v_sub_f32_e32 v116, v37, v126
	;; [unrolled: 1-line block ×6, first 2 shown]
	v_fma_f32 v105, v105, 2.0, -v111
	v_fma_f32 v106, v106, 2.0, -v112
	;; [unrolled: 1-line block ×10, first 2 shown]
	ds_write_b64 v86, v[99:100] offset:2744
	ds_write2_b64 v86, v[101:102], v[109:110] offset1:49
	ds_write2_b64 v90, v[103:104], v[111:112] offset0:136 offset1:185
	ds_write2_b64 v86, v[105:106], v[107:108] offset0:98 offset1:147
	ds_write2_b64 v89, v[113:114], v[115:116] offset0:106 offset1:155
	ds_write2_b64 v86, v[36:37], v[38:39] offset0:196 offset1:245
	ds_write_b64 v86, v[97:98] offset:2352
	ds_write2_b64 v88, v[117:118], v[119:120] offset0:76 offset1:125
	s_waitcnt lgkmcnt(0)
	; wave barrier
	s_waitcnt lgkmcnt(0)
	global_load_dwordx2 v[79:80], v[79:80], off offset:1392
	v_add_co_u32_e32 v105, vcc, s8, v91
	v_addc_co_u32_e32 v106, vcc, 0, v92, vcc
	global_load_dwordx2 v[101:102], v[105:106], off offset:784
	global_load_dwordx2 v[103:104], v[105:106], off offset:1176
	;; [unrolled: 1-line block ×9, first 2 shown]
	ds_read2_b64 v[36:39], v86 offset1:49
	s_movk_i32 s8, 0x2000
	v_add_co_u32_e32 v91, vcc, s8, v91
	v_addc_co_u32_e32 v92, vcc, 0, v92, vcc
	s_mov_b32 s8, 0xbf5ff5aa
	s_waitcnt vmcnt(6) lgkmcnt(0)
	v_mul_f32_e32 v122, v38, v108
	v_mul_f32_e32 v97, v37, v80
	;; [unrolled: 1-line block ×3, first 2 shown]
	v_fma_f32 v97, v36, v79, -v97
	v_fmac_f32_e32 v98, v37, v79
	ds_write_b64 v86, v[97:98]
	ds_read2_b64 v[97:100], v86 offset0:98 offset1:147
	v_fmac_f32_e32 v122, v39, v107
	s_waitcnt lgkmcnt(0)
	v_mul_f32_e32 v36, v98, v102
	v_fma_f32 v79, v97, v101, -v36
	v_mul_f32_e32 v36, v39, v108
	v_mul_f32_e32 v80, v97, v102
	v_fma_f32 v121, v38, v107, -v36
	ds_read2_b64 v[36:39], v86 offset0:196 offset1:245
	v_mul_f32_e32 v97, v100, v104
	v_mul_f32_e32 v124, v99, v104
	v_fmac_f32_e32 v80, v98, v101
	v_fma_f32 v123, v99, v103, -v97
	v_fmac_f32_e32 v124, v100, v103
	ds_read2_b64 v[97:100], v90 offset0:38 offset1:87
	s_waitcnt vmcnt(5) lgkmcnt(1)
	v_mul_f32_e32 v101, v37, v110
	v_fma_f32 v125, v36, v109, -v101
	v_mul_f32_e32 v126, v36, v110
	v_fmac_f32_e32 v126, v37, v109
	s_waitcnt vmcnt(4) lgkmcnt(0)
	v_mul_f32_e32 v36, v98, v112
	v_mul_f32_e32 v102, v97, v112
	v_fma_f32 v101, v97, v111, -v36
	v_fmac_f32_e32 v102, v98, v111
	s_waitcnt vmcnt(2)
	v_mul_f32_e32 v36, v39, v116
	v_mul_f32_e32 v98, v38, v116
	v_fma_f32 v97, v38, v115, -v36
	v_fmac_f32_e32 v98, v39, v115
	ds_read2_b64 v[36:39], v90 offset0:136 offset1:185
	v_add_u32_e32 v103, 0x400, v86
	ds_write2_b64 v103, v[97:98], v[101:102] offset0:117 offset1:166
	ds_read2_b64 v[101:104], v89 offset0:106 offset1:155
	global_load_dwordx2 v[97:98], v[91:92], off offset:1608
	global_load_dwordx2 v[109:110], v[105:106], off offset:3528
	s_waitcnt vmcnt(3) lgkmcnt(2)
	v_mul_f32_e32 v105, v37, v118
	v_mul_f32_e32 v112, v36, v118
	v_fma_f32 v111, v36, v117, -v105
	v_fmac_f32_e32 v112, v37, v117
	s_waitcnt vmcnt(2) lgkmcnt(0)
	v_mul_f32_e32 v36, v102, v120
	v_mul_f32_e32 v37, v101, v120
	v_fma_f32 v36, v101, v119, -v36
	v_fmac_f32_e32 v37, v102, v119
	global_load_dwordx2 v[101:102], v[91:92], off offset:2000
	global_load_dwordx2 v[115:116], v[91:92], off offset:2392
	ds_read2_b64 v[105:108], v88 offset0:76 offset1:125
	v_mul_f32_e32 v91, v100, v114
	v_mul_f32_e32 v92, v99, v114
	v_fma_f32 v91, v99, v113, -v91
	v_fmac_f32_e32 v92, v100, v113
	ds_write2_b64 v90, v[91:92], v[111:112] offset0:87 offset1:136
	ds_write2_b64 v86, v[121:122], v[79:80] offset0:49 offset1:98
	;; [unrolled: 1-line block ×3, first 2 shown]
	s_waitcnt vmcnt(2)
	v_mul_f32_e32 v91, v39, v110
	v_mul_f32_e32 v92, v38, v110
	v_fma_f32 v91, v38, v109, -v91
	v_fmac_f32_e32 v92, v39, v109
	ds_write2_b64 v90, v[91:92], v[36:37] offset0:185 offset1:234
	v_mul_f32_e32 v36, v104, v98
	v_mul_f32_e32 v37, v103, v98
	v_fma_f32 v36, v103, v97, -v36
	s_waitcnt vmcnt(1) lgkmcnt(4)
	v_mul_f32_e32 v79, v106, v102
	v_mul_f32_e32 v80, v105, v102
	v_fma_f32 v79, v105, v101, -v79
	v_fmac_f32_e32 v80, v106, v101
	v_fmac_f32_e32 v37, v104, v97
	ds_write2_b64 v88, v[36:37], v[79:80] offset0:27 offset1:76
	s_waitcnt vmcnt(0)
	v_mul_f32_e32 v36, v108, v116
	v_mul_f32_e32 v37, v107, v116
	v_fma_f32 v36, v107, v115, -v36
	v_fmac_f32_e32 v37, v108, v115
	ds_write_b64 v86, v[36:37] offset:5096
	s_waitcnt lgkmcnt(0)
	; wave barrier
	s_waitcnt lgkmcnt(0)
	ds_read2_b64 v[36:39], v86 offset0:98 offset1:147
	ds_read2_b64 v[97:100], v88 offset0:76 offset1:125
	;; [unrolled: 1-line block ×6, first 2 shown]
	s_waitcnt lgkmcnt(4)
	v_add_f32_e32 v79, v36, v97
	v_add_f32_e32 v80, v37, v98
	v_sub_f32_e32 v91, v36, v97
	v_sub_f32_e32 v92, v37, v98
	s_waitcnt lgkmcnt(0)
	v_add_f32_e32 v97, v101, v113
	v_sub_f32_e32 v101, v101, v113
	v_add_f32_e32 v113, v38, v99
	v_add_f32_e32 v117, v39, v100
	v_sub_f32_e32 v118, v38, v99
	v_sub_f32_e32 v119, v39, v100
	ds_read2_b64 v[36:39], v86 offset1:49
	v_add_f32_e32 v98, v102, v114
	v_sub_f32_e32 v99, v102, v114
	v_add_f32_e32 v100, v105, v109
	v_add_f32_e32 v114, v104, v116
	v_sub_f32_e32 v116, v104, v116
	v_add_f32_e32 v104, v97, v79
	;; [unrolled: 3-line block ×3, first 2 shown]
	v_sub_f32_e32 v115, v103, v115
	v_sub_f32_e32 v103, v110, v106
	v_add_f32_e32 v110, v107, v111
	v_sub_f32_e32 v107, v111, v107
	v_add_f32_e32 v106, v98, v80
	v_sub_f32_e32 v111, v97, v79
	v_sub_f32_e32 v79, v79, v100
	;; [unrolled: 1-line block ×3, first 2 shown]
	v_add_f32_e32 v100, v100, v104
	v_add_f32_e32 v120, v108, v112
	v_sub_f32_e32 v108, v112, v108
	v_sub_f32_e32 v112, v98, v80
	;; [unrolled: 1-line block ×4, first 2 shown]
	v_add_f32_e32 v121, v105, v101
	v_add_f32_e32 v102, v102, v106
	s_waitcnt lgkmcnt(0)
	v_add_f32_e32 v36, v36, v100
	v_add_f32_e32 v122, v103, v99
	v_sub_f32_e32 v104, v105, v101
	v_sub_f32_e32 v105, v91, v105
	;; [unrolled: 1-line block ×3, first 2 shown]
	v_add_f32_e32 v91, v121, v91
	v_mov_b32_e32 v121, v36
	v_add_f32_e32 v37, v37, v102
	v_sub_f32_e32 v106, v103, v99
	v_sub_f32_e32 v103, v92, v103
	;; [unrolled: 1-line block ×3, first 2 shown]
	v_add_f32_e32 v92, v122, v92
	v_fmac_f32_e32 v121, 0xbf955555, v100
	v_mov_b32_e32 v100, v37
	v_mul_f32_e32 v122, 0x3f08b237, v104
	v_mul_f32_e32 v104, 0x3f5ff5aa, v101
	v_fmac_f32_e32 v100, 0xbf955555, v102
	v_mul_f32_e32 v79, 0x3f4a47b2, v79
	v_mul_f32_e32 v102, 0x3d64c772, v97
	v_fma_f32 v101, v101, s8, -v122
	v_fmac_f32_e32 v122, 0xbeae86e6, v105
	v_fmac_f32_e32 v104, 0x3eae86e6, v105
	v_mul_f32_e32 v105, 0x3f08b237, v106
	v_fma_f32 v102, v111, s6, -v102
	v_fma_f32 v111, v111, s7, -v79
	v_fmac_f32_e32 v79, 0x3d64c772, v97
	v_mul_f32_e32 v80, 0x3f4a47b2, v80
	v_mul_f32_e32 v97, 0x3d64c772, v98
	;; [unrolled: 1-line block ×3, first 2 shown]
	v_fma_f32 v99, v99, s8, -v105
	v_fmac_f32_e32 v105, 0xbeae86e6, v103
	v_fma_f32 v97, v112, s6, -v97
	v_fma_f32 v112, v112, s7, -v80
	v_fmac_f32_e32 v80, 0x3d64c772, v98
	v_fmac_f32_e32 v106, 0x3eae86e6, v103
	v_add_f32_e32 v79, v79, v121
	v_fmac_f32_e32 v105, 0xbee1c552, v92
	v_add_f32_e32 v80, v80, v100
	v_add_f32_e32 v103, v97, v100
	;; [unrolled: 1-line block ×3, first 2 shown]
	v_fmac_f32_e32 v122, 0xbee1c552, v91
	v_fmac_f32_e32 v101, 0xbee1c552, v91
	;; [unrolled: 1-line block ×4, first 2 shown]
	v_add_f32_e32 v91, v79, v105
	v_sub_f32_e32 v105, v79, v105
	v_add_f32_e32 v79, v109, v113
	v_add_f32_e32 v102, v102, v121
	;; [unrolled: 1-line block ×3, first 2 shown]
	v_fmac_f32_e32 v99, 0xbee1c552, v92
	v_sub_f32_e32 v92, v80, v122
	v_add_f32_e32 v98, v101, v103
	v_sub_f32_e32 v100, v103, v101
	v_add_f32_e32 v101, v106, v111
	;; [unrolled: 2-line block ×3, first 2 shown]
	v_add_f32_e32 v80, v114, v117
	v_add_f32_e32 v79, v110, v79
	v_sub_f32_e32 v97, v102, v99
	v_add_f32_e32 v99, v99, v102
	v_sub_f32_e32 v102, v112, v104
	;; [unrolled: 2-line block ×3, first 2 shown]
	v_sub_f32_e32 v112, v114, v117
	v_sub_f32_e32 v113, v113, v110
	v_sub_f32_e32 v117, v117, v120
	v_sub_f32_e32 v109, v110, v109
	v_sub_f32_e32 v114, v120, v114
	v_add_f32_e32 v80, v120, v80
	v_add_f32_e32 v38, v38, v79
	;; [unrolled: 1-line block ×5, first 2 shown]
	v_sub_f32_e32 v121, v107, v115
	v_sub_f32_e32 v122, v108, v116
	v_sub_f32_e32 v107, v118, v107
	v_sub_f32_e32 v115, v115, v118
	v_sub_f32_e32 v116, v116, v119
	v_add_f32_e32 v110, v110, v118
	v_add_f32_e32 v118, v120, v119
	v_mov_b32_e32 v120, v38
	v_sub_f32_e32 v108, v119, v108
	v_mul_f32_e32 v113, 0x3f4a47b2, v113
	v_mul_f32_e32 v117, 0x3f4a47b2, v117
	;; [unrolled: 1-line block ×3, first 2 shown]
	v_fmac_f32_e32 v120, 0xbf955555, v79
	v_mov_b32_e32 v123, v39
	v_mul_f32_e32 v79, 0x3d64c772, v114
	v_mul_f32_e32 v121, 0x3f08b237, v121
	;; [unrolled: 1-line block ×5, first 2 shown]
	v_fmac_f32_e32 v123, 0xbf955555, v80
	v_fma_f32 v119, v111, s6, -v119
	v_fma_f32 v111, v111, s7, -v113
	v_fmac_f32_e32 v113, 0x3d64c772, v109
	v_fma_f32 v109, v112, s6, -v79
	v_fma_f32 v112, v112, s7, -v117
	v_fmac_f32_e32 v117, 0x3d64c772, v114
	v_fma_f32 v114, v115, s8, -v121
	v_fmac_f32_e32 v121, 0xbeae86e6, v107
	v_fma_f32 v115, v116, s8, -v122
	v_fmac_f32_e32 v122, 0xbeae86e6, v108
	v_fmac_f32_e32 v124, 0x3eae86e6, v107
	v_fmac_f32_e32 v125, 0x3eae86e6, v108
	v_add_f32_e32 v126, v113, v120
	v_add_f32_e32 v127, v117, v123
	;; [unrolled: 1-line block ×6, first 2 shown]
	v_fmac_f32_e32 v121, 0xbee1c552, v110
	v_fmac_f32_e32 v122, 0xbee1c552, v118
	;; [unrolled: 1-line block ×6, first 2 shown]
	v_add_f32_e32 v107, v126, v122
	v_sub_f32_e32 v108, v127, v121
	v_sub_f32_e32 v109, v113, v115
	v_add_f32_e32 v110, v114, v116
	v_add_f32_e32 v111, v115, v113
	v_sub_f32_e32 v112, v116, v114
	v_add_f32_e32 v113, v125, v117
	v_sub_f32_e32 v114, v119, v124
	v_sub_f32_e32 v115, v117, v125
	v_add_f32_e32 v116, v124, v119
	v_sub_f32_e32 v117, v126, v122
	v_add_f32_e32 v118, v121, v127
	s_waitcnt lgkmcnt(0)
	; wave barrier
	ds_write2_b64 v96, v[36:37], v[91:92] offset1:1
	ds_write2_b64 v96, v[101:102], v[97:98] offset0:2 offset1:3
	ds_write2_b64 v96, v[99:100], v[103:104] offset0:4 offset1:5
	ds_write_b64 v96, v[105:106] offset:48
	ds_write2_b64 v94, v[38:39], v[107:108] offset1:1
	ds_write2_b64 v94, v[113:114], v[109:110] offset0:2 offset1:3
	ds_write2_b64 v94, v[111:112], v[115:116] offset0:4 offset1:5
	ds_write_b64 v94, v[117:118] offset:48
	s_waitcnt lgkmcnt(0)
	; wave barrier
	s_waitcnt lgkmcnt(0)
	ds_read2_b64 v[36:39], v86 offset1:49
	ds_read2_b64 v[96:99], v86 offset0:98 offset1:147
	ds_read2_b64 v[100:103], v86 offset0:196 offset1:245
	;; [unrolled: 1-line block ×6, first 2 shown]
	s_waitcnt lgkmcnt(5)
	v_mul_f32_e32 v91, v9, v97
	v_mul_f32_e32 v9, v9, v96
	v_fmac_f32_e32 v91, v8, v96
	v_fma_f32 v8, v8, v97, -v9
	s_waitcnt lgkmcnt(4)
	v_mul_f32_e32 v9, v11, v101
	v_mul_f32_e32 v11, v11, v100
	v_fmac_f32_e32 v9, v10, v100
	v_fma_f32 v10, v10, v101, -v11
	;; [unrolled: 5-line block ×6, first 2 shown]
	v_mul_f32_e32 v31, v21, v99
	v_mul_f32_e32 v21, v21, v98
	v_fmac_f32_e32 v31, v20, v98
	v_fma_f32 v20, v20, v99, -v21
	v_mul_f32_e32 v21, v23, v103
	v_mul_f32_e32 v23, v23, v102
	v_fmac_f32_e32 v21, v22, v102
	v_fma_f32 v22, v22, v103, -v23
	;; [unrolled: 4-line block ×3, first 2 shown]
	v_mul_f32_e32 v94, v15, v111
	v_mul_f32_e32 v12, v15, v110
	;; [unrolled: 1-line block ×4, first 2 shown]
	v_fmac_f32_e32 v15, v0, v114
	v_fma_f32 v96, v0, v115, -v1
	v_mul_f32_e32 v0, v3, v118
	v_mul_f32_e32 v97, v3, v119
	v_fma_f32 v98, v2, v119, -v0
	v_add_f32_e32 v0, v91, v29
	v_add_f32_e32 v1, v8, v30
	v_sub_f32_e32 v3, v8, v30
	v_add_f32_e32 v8, v9, v7
	v_fmac_f32_e32 v94, v14, v110
	v_fma_f32 v14, v14, v111, -v12
	v_add_f32_e32 v12, v10, v28
	v_sub_f32_e32 v7, v9, v7
	v_sub_f32_e32 v9, v10, v28
	v_add_f32_e32 v10, v11, v5
	v_add_f32_e32 v13, v4, v6
	v_sub_f32_e32 v4, v6, v4
	v_add_f32_e32 v6, v8, v0
	v_sub_f32_e32 v5, v5, v11
	;; [unrolled: 2-line block ×3, first 2 shown]
	v_sub_f32_e32 v0, v0, v10
	v_sub_f32_e32 v8, v10, v8
	v_add_f32_e32 v10, v10, v6
	v_fmac_f32_e32 v97, v2, v118
	v_sub_f32_e32 v2, v91, v29
	v_sub_f32_e32 v100, v4, v9
	v_add_f32_e32 v11, v13, v11
	v_add_f32_e32 v6, v36, v10
	v_sub_f32_e32 v29, v12, v1
	v_sub_f32_e32 v12, v13, v12
	v_add_f32_e32 v30, v5, v7
	v_add_f32_e32 v91, v4, v9
	v_sub_f32_e32 v99, v5, v7
	v_sub_f32_e32 v101, v7, v2
	;; [unrolled: 1-line block ×3, first 2 shown]
	v_add_f32_e32 v7, v37, v11
	v_mul_f32_e32 v37, 0x3f08b237, v100
	v_mov_b32_e32 v100, v6
	v_sub_f32_e32 v1, v1, v13
	v_sub_f32_e32 v5, v2, v5
	;; [unrolled: 1-line block ×3, first 2 shown]
	v_add_f32_e32 v2, v30, v2
	v_mul_f32_e32 v0, 0x3f4a47b2, v0
	v_mul_f32_e32 v13, 0x3d64c772, v8
	;; [unrolled: 1-line block ×5, first 2 shown]
	v_fmac_f32_e32 v100, 0xbf955555, v10
	v_mov_b32_e32 v10, v7
	v_add_f32_e32 v3, v91, v3
	v_mul_f32_e32 v1, 0x3f4a47b2, v1
	v_mul_f32_e32 v91, 0x3f5ff5aa, v101
	v_fmac_f32_e32 v10, 0xbf955555, v11
	v_fma_f32 v11, v28, s6, -v13
	v_fma_f32 v13, v29, s6, -v30
	;; [unrolled: 1-line block ×4, first 2 shown]
	v_fmac_f32_e32 v99, 0x3eae86e6, v4
	v_fmac_f32_e32 v0, 0x3d64c772, v8
	v_fma_f32 v8, v29, s7, -v1
	v_fmac_f32_e32 v1, 0x3d64c772, v12
	v_fma_f32 v29, v101, s8, -v36
	v_fmac_f32_e32 v36, 0xbeae86e6, v5
	v_fmac_f32_e32 v37, 0xbeae86e6, v4
	;; [unrolled: 1-line block ×3, first 2 shown]
	v_add_f32_e32 v4, v11, v100
	v_add_f32_e32 v28, v28, v100
	v_fmac_f32_e32 v30, 0xbee1c552, v3
	v_fmac_f32_e32 v99, 0xbee1c552, v3
	v_add_f32_e32 v0, v0, v100
	v_add_f32_e32 v1, v1, v10
	v_add_f32_e32 v5, v13, v10
	v_add_f32_e32 v100, v8, v10
	v_fmac_f32_e32 v36, 0xbee1c552, v2
	v_fmac_f32_e32 v29, 0xbee1c552, v2
	;; [unrolled: 1-line block ×3, first 2 shown]
	v_add_f32_e32 v10, v99, v28
	v_sub_f32_e32 v12, v4, v30
	v_add_f32_e32 v2, v30, v4
	v_sub_f32_e32 v4, v28, v99
	;; [unrolled: 2-line block ×3, first 2 shown]
	v_add_f32_e32 v31, v21, v15
	v_fmac_f32_e32 v37, 0xbee1c552, v3
	v_sub_f32_e32 v9, v1, v36
	v_sub_f32_e32 v11, v100, v91
	v_add_f32_e32 v13, v29, v5
	v_sub_f32_e32 v3, v5, v29
	v_add_f32_e32 v5, v91, v100
	v_add_f32_e32 v1, v36, v1
	;; [unrolled: 1-line block ×4, first 2 shown]
	v_sub_f32_e32 v15, v21, v15
	v_sub_f32_e32 v21, v22, v96
	v_add_f32_e32 v22, v23, v94
	v_add_f32_e32 v91, v31, v28
	;; [unrolled: 1-line block ×3, first 2 shown]
	v_sub_f32_e32 v0, v0, v37
	v_sub_f32_e32 v20, v20, v98
	v_add_f32_e32 v37, v92, v14
	v_sub_f32_e32 v23, v94, v23
	v_sub_f32_e32 v14, v14, v92
	v_add_f32_e32 v92, v36, v29
	v_sub_f32_e32 v94, v31, v28
	v_sub_f32_e32 v28, v28, v22
	v_sub_f32_e32 v31, v22, v31
	v_add_f32_e32 v22, v22, v91
	v_sub_f32_e32 v96, v36, v29
	;; [unrolled: 4-line block ×3, first 2 shown]
	v_sub_f32_e32 v100, v14, v21
	v_sub_f32_e32 v101, v20, v14
	v_add_f32_e32 v37, v37, v92
	v_add_f32_e32 v14, v38, v22
	;; [unrolled: 1-line block ×3, first 2 shown]
	v_sub_f32_e32 v102, v15, v30
	v_sub_f32_e32 v21, v21, v20
	v_add_f32_e32 v15, v39, v37
	v_mul_f32_e32 v91, 0x3f08b237, v99
	v_mov_b32_e32 v99, v14
	v_sub_f32_e32 v23, v30, v23
	v_add_f32_e32 v30, v97, v30
	v_add_f32_e32 v20, v98, v20
	v_mul_f32_e32 v28, 0x3f4a47b2, v28
	v_mul_f32_e32 v29, 0x3f4a47b2, v29
	v_mul_f32_e32 v38, 0x3d64c772, v31
	v_mul_f32_e32 v39, 0x3d64c772, v36
	v_mul_f32_e32 v92, 0x3f08b237, v100
	v_mul_f32_e32 v97, 0x3f5ff5aa, v102
	v_mul_f32_e32 v98, 0x3f5ff5aa, v21
	v_fmac_f32_e32 v99, 0xbf955555, v22
	v_mov_b32_e32 v22, v15
	v_fmac_f32_e32 v22, 0xbf955555, v37
	v_fma_f32 v37, v94, s6, -v38
	v_fma_f32 v38, v96, s6, -v39
	;; [unrolled: 1-line block ×3, first 2 shown]
	v_fmac_f32_e32 v28, 0x3d64c772, v31
	v_fma_f32 v31, v96, s7, -v29
	v_fmac_f32_e32 v29, 0x3d64c772, v36
	v_fma_f32 v36, v102, s8, -v91
	;; [unrolled: 2-line block ×3, first 2 shown]
	v_fmac_f32_e32 v92, 0xbeae86e6, v101
	v_fmac_f32_e32 v97, 0x3eae86e6, v23
	;; [unrolled: 1-line block ×3, first 2 shown]
	v_add_f32_e32 v96, v28, v99
	v_add_f32_e32 v100, v29, v22
	;; [unrolled: 1-line block ×6, first 2 shown]
	v_fmac_f32_e32 v91, 0xbee1c552, v30
	v_fmac_f32_e32 v92, 0xbee1c552, v20
	v_fmac_f32_e32 v36, 0xbee1c552, v30
	v_fmac_f32_e32 v94, 0xbee1c552, v20
	v_fmac_f32_e32 v97, 0xbee1c552, v30
	v_fmac_f32_e32 v98, 0xbee1c552, v20
	v_add_f32_e32 v20, v92, v96
	v_sub_f32_e32 v21, v100, v91
	v_add_f32_e32 v22, v98, v39
	v_sub_f32_e32 v23, v99, v97
	v_sub_f32_e32 v28, v37, v94
	v_add_f32_e32 v29, v36, v38
	v_add_f32_e32 v30, v94, v37
	v_sub_f32_e32 v31, v38, v36
	v_sub_f32_e32 v36, v39, v98
	v_add_f32_e32 v37, v97, v99
	v_sub_f32_e32 v38, v96, v92
	v_add_f32_e32 v39, v91, v100
	s_waitcnt lgkmcnt(0)
	; wave barrier
	ds_write2_b64 v93, v[6:7], v[8:9] offset1:7
	ds_write2_b64 v93, v[10:11], v[12:13] offset0:14 offset1:21
	ds_write2_b64 v93, v[2:3], v[4:5] offset0:28 offset1:35
	ds_write_b64 v93, v[0:1] offset:336
	ds_write2_b64 v95, v[14:15], v[20:21] offset1:7
	ds_write2_b64 v95, v[22:23], v[28:29] offset0:14 offset1:21
	ds_write2_b64 v95, v[30:31], v[36:37] offset0:28 offset1:35
	ds_write_b64 v95, v[38:39] offset:336
	s_waitcnt lgkmcnt(0)
	; wave barrier
	s_waitcnt lgkmcnt(0)
	ds_read2_b64 v[0:3], v86 offset1:49
	ds_read2_b64 v[4:7], v86 offset0:98 offset1:147
	ds_read2_b64 v[8:11], v86 offset0:196 offset1:245
	;; [unrolled: 1-line block ×6, first 2 shown]
	s_waitcnt lgkmcnt(5)
	v_mul_f32_e32 v91, v33, v5
	v_fmac_f32_e32 v91, v32, v4
	v_mul_f32_e32 v4, v33, v4
	v_fma_f32 v4, v32, v5, -v4
	s_waitcnt lgkmcnt(4)
	v_mul_f32_e32 v5, v35, v9
	v_fmac_f32_e32 v5, v34, v8
	v_mul_f32_e32 v8, v35, v8
	v_fma_f32 v8, v34, v9, -v8
	;; [unrolled: 5-line block ×6, first 2 shown]
	v_mul_f32_e32 v37, v33, v7
	v_fmac_f32_e32 v37, v32, v6
	v_mul_f32_e32 v6, v33, v6
	v_fma_f32 v32, v32, v7, -v6
	v_mul_f32_e32 v33, v35, v11
	v_mul_f32_e32 v6, v35, v10
	v_fmac_f32_e32 v33, v34, v10
	v_fma_f32 v34, v34, v11, -v6
	v_mul_f32_e32 v35, v25, v15
	v_mul_f32_e32 v6, v25, v14
	v_fmac_f32_e32 v35, v24, v14
	;; [unrolled: 4-line block ×5, first 2 shown]
	v_fma_f32 v18, v18, v39, -v6
	v_add_f32_e32 v6, v91, v29
	v_add_f32_e32 v11, v5, v21
	;; [unrolled: 1-line block ×5, first 2 shown]
	v_sub_f32_e32 v9, v13, v9
	v_add_f32_e32 v13, v11, v6
	v_sub_f32_e32 v4, v4, v36
	v_sub_f32_e32 v5, v5, v21
	;; [unrolled: 1-line block ×3, first 2 shown]
	v_add_f32_e32 v19, v12, v20
	v_sub_f32_e32 v12, v20, v12
	v_add_f32_e32 v20, v14, v7
	v_add_f32_e32 v13, v15, v13
	v_sub_f32_e32 v10, v91, v29
	v_sub_f32_e32 v21, v11, v6
	;; [unrolled: 1-line block ×4, first 2 shown]
	v_add_f32_e32 v28, v12, v8
	v_sub_f32_e32 v29, v9, v5
	v_sub_f32_e32 v30, v12, v8
	;; [unrolled: 1-line block ×3, first 2 shown]
	v_add_f32_e32 v15, v19, v20
	v_add_f32_e32 v8, v0, v13
	v_sub_f32_e32 v26, v14, v7
	v_sub_f32_e32 v7, v7, v19
	;; [unrolled: 1-line block ×3, first 2 shown]
	v_add_f32_e32 v27, v9, v5
	v_sub_f32_e32 v31, v10, v9
	v_add_f32_e32 v9, v1, v15
	v_mul_f32_e32 v19, 0x3f08b237, v29
	v_mov_b32_e32 v29, v8
	v_sub_f32_e32 v5, v5, v10
	v_mul_f32_e32 v0, 0x3f4a47b2, v6
	v_mul_f32_e32 v1, 0x3f4a47b2, v7
	;; [unrolled: 1-line block ×4, first 2 shown]
	v_fmac_f32_e32 v29, 0xbf955555, v13
	v_mov_b32_e32 v13, v9
	v_sub_f32_e32 v12, v4, v12
	v_add_f32_e32 v10, v27, v10
	v_add_f32_e32 v4, v28, v4
	v_mul_f32_e32 v7, 0x3d64c772, v14
	v_mul_f32_e32 v27, 0x3f5ff5aa, v5
	v_mul_f32_e32 v28, 0x3f5ff5aa, v36
	v_fmac_f32_e32 v13, 0xbf955555, v15
	v_fma_f32 v6, v21, s6, -v6
	v_fma_f32 v15, v21, s7, -v0
	v_fmac_f32_e32 v0, 0x3d64c772, v11
	v_fma_f32 v11, v26, s7, -v1
	v_fmac_f32_e32 v1, 0x3d64c772, v14
	;; [unrolled: 2-line block ×3, first 2 shown]
	v_fma_f32 v21, v36, s8, -v20
	v_fma_f32 v7, v26, s6, -v7
	v_fmac_f32_e32 v20, 0xbeae86e6, v12
	v_fmac_f32_e32 v27, 0x3eae86e6, v31
	;; [unrolled: 1-line block ×3, first 2 shown]
	v_add_f32_e32 v1, v1, v13
	v_add_f32_e32 v6, v6, v29
	v_fmac_f32_e32 v19, 0xbee1c552, v10
	v_fmac_f32_e32 v21, 0xbee1c552, v4
	v_add_f32_e32 v0, v0, v29
	v_add_f32_e32 v7, v7, v13
	;; [unrolled: 1-line block ×4, first 2 shown]
	v_fmac_f32_e32 v20, 0xbee1c552, v4
	v_fmac_f32_e32 v5, 0xbee1c552, v10
	;; [unrolled: 1-line block ×4, first 2 shown]
	v_sub_f32_e32 v15, v1, v19
	v_sub_f32_e32 v12, v6, v21
	v_add_f32_e32 v4, v21, v6
	v_add_f32_e32 v1, v19, v1
	;; [unrolled: 1-line block ×6, first 2 shown]
	v_sub_f32_e32 v11, v29, v27
	v_add_f32_e32 v13, v5, v7
	v_sub_f32_e32 v5, v7, v5
	v_sub_f32_e32 v6, v26, v28
	v_add_f32_e32 v7, v27, v29
	v_sub_f32_e32 v0, v0, v20
	v_add_f32_e32 v20, v32, v18
	v_add_f32_e32 v26, v34, v16
	;; [unrolled: 1-line block ×4, first 2 shown]
	v_sub_f32_e32 v22, v22, v24
	v_add_f32_e32 v24, v21, v19
	v_add_f32_e32 v29, v26, v20
	v_add_f32_e32 v24, v27, v24
	v_sub_f32_e32 v17, v37, v17
	v_sub_f32_e32 v18, v32, v18
	;; [unrolled: 1-line block ×8, first 2 shown]
	v_add_f32_e32 v27, v28, v29
	v_add_f32_e32 v2, v2, v24
	v_sub_f32_e32 v31, v26, v20
	v_sub_f32_e32 v20, v20, v28
	;; [unrolled: 1-line block ×3, first 2 shown]
	v_add_f32_e32 v32, v25, v23
	v_add_f32_e32 v33, v22, v16
	v_sub_f32_e32 v34, v25, v23
	v_sub_f32_e32 v35, v22, v16
	;; [unrolled: 1-line block ×4, first 2 shown]
	v_add_f32_e32 v3, v3, v27
	v_mov_b32_e32 v36, v2
	v_sub_f32_e32 v25, v17, v25
	v_sub_f32_e32 v22, v18, v22
	v_add_f32_e32 v17, v32, v17
	v_add_f32_e32 v18, v33, v18
	v_mul_f32_e32 v19, 0x3f4a47b2, v19
	v_mul_f32_e32 v20, 0x3f4a47b2, v20
	;; [unrolled: 1-line block ×8, first 2 shown]
	v_fmac_f32_e32 v36, 0xbf955555, v24
	v_mov_b32_e32 v24, v3
	v_fmac_f32_e32 v24, 0xbf955555, v27
	v_fma_f32 v27, v30, s6, -v28
	v_fma_f32 v28, v31, s6, -v29
	;; [unrolled: 1-line block ×3, first 2 shown]
	v_fmac_f32_e32 v19, 0x3d64c772, v21
	v_fma_f32 v21, v31, s7, -v20
	v_fmac_f32_e32 v20, 0x3d64c772, v26
	v_fma_f32 v23, v23, s8, -v32
	v_fmac_f32_e32 v32, 0xbeae86e6, v25
	v_fma_f32 v26, v16, s8, -v33
	v_fmac_f32_e32 v33, 0xbeae86e6, v22
	v_fmac_f32_e32 v34, 0x3eae86e6, v25
	;; [unrolled: 1-line block ×3, first 2 shown]
	v_add_f32_e32 v30, v19, v36
	v_add_f32_e32 v31, v20, v24
	;; [unrolled: 1-line block ×6, first 2 shown]
	v_fmac_f32_e32 v32, 0xbee1c552, v17
	v_fmac_f32_e32 v33, 0xbee1c552, v18
	v_fmac_f32_e32 v23, 0xbee1c552, v17
	v_fmac_f32_e32 v26, 0xbee1c552, v18
	v_fmac_f32_e32 v34, 0xbee1c552, v17
	v_fmac_f32_e32 v35, 0xbee1c552, v18
	v_add_f32_e32 v16, v33, v30
	v_sub_f32_e32 v17, v31, v32
	v_add_f32_e32 v18, v35, v27
	v_sub_f32_e32 v19, v28, v34
	v_sub_f32_e32 v20, v22, v26
	v_add_f32_e32 v21, v23, v25
	v_add_f32_e32 v22, v26, v22
	v_sub_f32_e32 v23, v25, v23
	v_sub_f32_e32 v24, v27, v35
	v_add_f32_e32 v25, v34, v28
	v_sub_f32_e32 v26, v30, v33
	v_add_f32_e32 v27, v32, v31
	s_waitcnt lgkmcnt(0)
	; wave barrier
	ds_write2_b64 v86, v[8:9], v[14:15] offset1:49
	ds_write2_b64 v86, v[10:11], v[12:13] offset0:98 offset1:147
	ds_write2_b64 v86, v[4:5], v[6:7] offset0:196 offset1:245
	;; [unrolled: 1-line block ×6, first 2 shown]
	s_waitcnt lgkmcnt(0)
	; wave barrier
	s_waitcnt lgkmcnt(0)
	ds_read2_b64 v[0:3], v86 offset1:49
	ds_read2_b64 v[4:7], v90 offset0:38 offset1:87
	ds_read2_b64 v[8:11], v90 offset0:136 offset1:185
	;; [unrolled: 1-line block ×6, first 2 shown]
	s_waitcnt lgkmcnt(5)
	v_mul_f32_e32 v28, v70, v7
	v_fmac_f32_e32 v28, v69, v6
	v_mul_f32_e32 v6, v70, v6
	v_fma_f32 v7, v69, v7, -v6
	s_waitcnt lgkmcnt(4)
	v_mul_f32_e32 v6, v72, v8
	v_mul_f32_e32 v29, v72, v9
	v_fma_f32 v9, v71, v9, -v6
	v_mul_f32_e32 v6, v76, v10
	v_mul_f32_e32 v30, v76, v11
	v_fma_f32 v11, v75, v11, -v6
	s_waitcnt lgkmcnt(2)
	v_mul_f32_e32 v6, v74, v16
	v_mul_f32_e32 v31, v74, v17
	v_fma_f32 v17, v73, v17, -v6
	v_mul_f32_e32 v6, v78, v18
	v_mul_f32_e32 v32, v78, v19
	v_fma_f32 v19, v77, v19, -v6
	s_waitcnt lgkmcnt(0)
	v_mul_f32_e32 v6, v82, v24
	v_fmac_f32_e32 v29, v71, v8
	v_mul_f32_e32 v33, v82, v25
	v_fma_f32 v25, v81, v25, -v6
	v_mul_f32_e32 v34, v84, v27
	v_mul_f32_e32 v6, v84, v26
	v_fmac_f32_e32 v30, v75, v10
	v_fmac_f32_e32 v31, v73, v16
	;; [unrolled: 1-line block ×5, first 2 shown]
	v_fma_f32 v27, v83, v27, -v6
	v_sub_f32_e32 v6, v0, v28
	v_sub_f32_e32 v7, v1, v7
	;; [unrolled: 1-line block ×4, first 2 shown]
	v_mad_u64_u32 v[79:80], s[10:11], s2, v64, 0
	v_fma_f32 v0, v0, 2.0, -v6
	v_fma_f32 v1, v1, 2.0, -v7
	;; [unrolled: 1-line block ×4, first 2 shown]
	v_sub_f32_e32 v10, v12, v30
	v_sub_f32_e32 v11, v13, v11
	;; [unrolled: 1-line block ×10, first 2 shown]
	v_fma_f32 v12, v12, 2.0, -v10
	v_fma_f32 v13, v13, 2.0, -v11
	;; [unrolled: 1-line block ×10, first 2 shown]
	ds_write_b64 v86, v[6:7] offset:2744
	ds_write2_b64 v86, v[0:1], v[2:3] offset1:49
	ds_write2_b64 v90, v[8:9], v[10:11] offset0:136 offset1:185
	ds_write2_b64 v86, v[12:13], v[14:15] offset0:98 offset1:147
	;; [unrolled: 1-line block ×4, first 2 shown]
	ds_write_b64 v86, v[4:5] offset:2352
	ds_write2_b64 v88, v[24:25], v[26:27] offset0:76 offset1:125
	s_waitcnt lgkmcnt(0)
	; wave barrier
	s_waitcnt lgkmcnt(0)
	ds_read2_b64 v[0:3], v86 offset1:49
	v_mov_b32_e32 v4, v80
	v_mad_u64_u32 v[4:5], s[2:3], s3, v64, v[4:5]
	s_mov_b32 s2, 0x515a4f1d
	s_waitcnt lgkmcnt(0)
	v_mul_f32_e32 v5, v68, v1
	v_fmac_f32_e32 v5, v67, v0
	v_cvt_f64_f32_e32 v[5:6], v5
	s_mov_b32 s3, 0x3f57e225
	v_mul_f32_e32 v0, v68, v0
	v_mad_u64_u32 v[8:9], s[6:7], s0, v87, 0
	v_mul_f64 v[5:6], v[5:6], s[2:3]
	v_fma_f32 v0, v67, v1, -v0
	v_cvt_f64_f32_e32 v[0:1], v0
	v_mov_b32_e32 v80, v4
	v_mov_b32_e32 v4, v9
	v_mov_b32_e32 v14, s5
	v_mul_f64 v[0:1], v[0:1], s[2:3]
	s_mul_hi_u32 s5, s0, 0x310
	v_mad_u64_u32 v[9:10], s[6:7], s1, v87, v[4:5]
	v_cvt_f32_f64_e32 v10, v[5:6]
	ds_read2_b64 v[4:7], v86 offset0:98 offset1:147
	v_cvt_f32_f64_e32 v11, v[0:1]
	v_lshlrev_b64 v[0:1], 3, v[79:80]
	s_waitcnt lgkmcnt(0)
	v_mul_f32_e32 v12, v66, v5
	v_fmac_f32_e32 v12, v65, v4
	v_mul_f32_e32 v4, v66, v4
	v_fma_f32 v4, v65, v5, -v4
	v_cvt_f64_f32_e32 v[4:5], v4
	v_add_co_u32_e32 v15, vcc, s4, v0
	v_addc_co_u32_e32 v14, vcc, v14, v1, vcc
	v_lshlrev_b64 v[0:1], 3, v[8:9]
	v_mul_f64 v[4:5], v[4:5], s[2:3]
	v_add_co_u32_e32 v0, vcc, v15, v0
	v_addc_co_u32_e32 v1, vcc, v14, v1, vcc
	global_store_dwordx2 v[0:1], v[10:11], off
	ds_read2_b64 v[8:11], v86 offset0:196 offset1:245
	v_cvt_f64_f32_e32 v[12:13], v12
	v_cvt_f32_f64_e32 v17, v[4:5]
	s_mul_i32 s4, s1, 0x310
	s_add_i32 s4, s5, s4
	s_waitcnt lgkmcnt(0)
	v_mul_f32_e32 v4, v63, v9
	v_mul_f64 v[12:13], v[12:13], s[2:3]
	v_fmac_f32_e32 v4, v62, v8
	v_cvt_f64_f32_e32 v[4:5], v4
	v_mul_f32_e32 v8, v63, v8
	v_fma_f32 v8, v62, v9, -v8
	v_cvt_f64_f32_e32 v[8:9], v8
	v_mul_f64 v[4:5], v[4:5], s[2:3]
	s_mul_i32 s5, s0, 0x310
	v_cvt_f32_f64_e32 v16, v[12:13]
	ds_read2_b64 v[12:15], v90 offset0:38 offset1:87
	v_mul_f64 v[8:9], v[8:9], s[2:3]
	v_mov_b32_e32 v18, s4
	v_add_co_u32_e32 v0, vcc, s5, v0
	v_cvt_f32_f64_e32 v4, v[4:5]
	s_waitcnt lgkmcnt(0)
	v_mul_f32_e32 v5, v61, v13
	v_addc_co_u32_e32 v1, vcc, v1, v18, vcc
	v_fmac_f32_e32 v5, v60, v12
	global_store_dwordx2 v[0:1], v[16:17], off
	v_cvt_f64_f32_e32 v[16:17], v5
	v_mul_f32_e32 v5, v61, v12
	v_fma_f32 v5, v60, v13, -v5
	v_cvt_f64_f32_e32 v[12:13], v5
	v_cvt_f32_f64_e32 v5, v[8:9]
	v_mul_f64 v[8:9], v[16:17], s[2:3]
	ds_read2_b64 v[16:19], v90 offset0:136 offset1:185
	v_mov_b32_e32 v20, s4
	v_add_co_u32_e32 v0, vcc, s5, v0
	v_addc_co_u32_e32 v1, vcc, v1, v20, vcc
	v_mul_f64 v[12:13], v[12:13], s[2:3]
	global_store_dwordx2 v[0:1], v[4:5], off
	s_waitcnt lgkmcnt(0)
	v_mul_f32_e32 v4, v59, v17
	v_fmac_f32_e32 v4, v58, v16
	v_cvt_f64_f32_e32 v[4:5], v4
	v_cvt_f32_f64_e32 v8, v[8:9]
	ds_read2_b64 v[20:23], v89 offset0:106 offset1:155
	v_mov_b32_e32 v24, s4
	v_mul_f64 v[4:5], v[4:5], s[2:3]
	v_cvt_f32_f64_e32 v9, v[12:13]
	v_mul_f32_e32 v12, v59, v16
	v_fma_f32 v12, v58, v17, -v12
	v_cvt_f64_f32_e32 v[12:13], v12
	v_add_co_u32_e32 v0, vcc, s5, v0
	v_addc_co_u32_e32 v1, vcc, v1, v24, vcc
	global_store_dwordx2 v[0:1], v[8:9], off
	v_mul_f64 v[8:9], v[12:13], s[2:3]
	v_cvt_f32_f64_e32 v4, v[4:5]
	s_waitcnt lgkmcnt(0)
	v_mul_f32_e32 v5, v57, v21
	v_fmac_f32_e32 v5, v56, v20
	v_cvt_f64_f32_e32 v[12:13], v5
	v_mul_f32_e32 v5, v57, v20
	v_fma_f32 v5, v56, v21, -v5
	v_cvt_f64_f32_e32 v[16:17], v5
	v_cvt_f32_f64_e32 v5, v[8:9]
	v_mul_f64 v[8:9], v[12:13], s[2:3]
	ds_read2_b64 v[24:27], v88 offset0:76 offset1:125
	v_mul_f64 v[12:13], v[16:17], s[2:3]
	v_mov_b32_e32 v20, s4
	v_add_co_u32_e32 v0, vcc, s5, v0
	v_addc_co_u32_e32 v1, vcc, v1, v20, vcc
	global_store_dwordx2 v[0:1], v[4:5], off
	v_cvt_f32_f64_e32 v4, v[8:9]
	v_cvt_f32_f64_e32 v5, v[12:13]
	s_waitcnt lgkmcnt(0)
	v_mul_f32_e32 v8, v55, v25
	v_mul_f32_e32 v12, v55, v24
	v_fmac_f32_e32 v8, v54, v24
	v_fma_f32 v12, v54, v25, -v12
	v_cvt_f64_f32_e32 v[8:9], v8
	v_cvt_f64_f32_e32 v[12:13], v12
	v_mov_b32_e32 v16, s4
	v_add_co_u32_e32 v0, vcc, s5, v0
	v_addc_co_u32_e32 v1, vcc, v1, v16, vcc
	global_store_dwordx2 v[0:1], v[4:5], off
	v_mul_f64 v[4:5], v[8:9], s[2:3]
	v_mul_f64 v[8:9], v[12:13], s[2:3]
	v_mul_f32_e32 v12, v53, v3
	v_fmac_f32_e32 v12, v52, v2
	v_mul_f32_e32 v2, v53, v2
	v_fma_f32 v2, v52, v3, -v2
	v_cvt_f64_f32_e32 v[2:3], v2
	v_cvt_f64_f32_e32 v[12:13], v12
	v_cvt_f32_f64_e32 v4, v[4:5]
	v_cvt_f32_f64_e32 v5, v[8:9]
	v_mul_f64 v[2:3], v[2:3], s[2:3]
	v_mul_f64 v[8:9], v[12:13], s[2:3]
	v_mov_b32_e32 v12, s4
	v_add_co_u32_e32 v0, vcc, s5, v0
	v_addc_co_u32_e32 v1, vcc, v1, v12, vcc
	global_store_dwordx2 v[0:1], v[4:5], off
	v_cvt_f32_f64_e32 v5, v[2:3]
	v_mul_f32_e32 v2, v49, v7
	v_fmac_f32_e32 v2, v48, v6
	v_mul_f32_e32 v6, v49, v6
	v_mad_u64_u32 v[0:1], s[6:7], s0, v85, v[0:1]
	v_fma_f32 v6, v48, v7, -v6
	v_cvt_f32_f64_e32 v4, v[8:9]
	v_cvt_f64_f32_e32 v[2:3], v2
	v_cvt_f64_f32_e32 v[6:7], v6
	s_mulk_i32 s1, 0xef28
	s_sub_i32 s0, s1, s0
	v_add_u32_e32 v1, s0, v1
	global_store_dwordx2 v[0:1], v[4:5], off
	v_mul_f64 v[2:3], v[2:3], s[2:3]
	v_mul_f64 v[4:5], v[6:7], s[2:3]
	v_mul_f32_e32 v6, v51, v11
	v_mul_f32_e32 v8, v51, v10
	v_fmac_f32_e32 v6, v50, v10
	v_fma_f32 v8, v50, v11, -v8
	v_cvt_f64_f32_e32 v[6:7], v6
	v_cvt_f64_f32_e32 v[8:9], v8
	v_cvt_f32_f64_e32 v2, v[2:3]
	v_cvt_f32_f64_e32 v3, v[4:5]
	v_mul_f64 v[4:5], v[6:7], s[2:3]
	v_mul_f64 v[6:7], v[8:9], s[2:3]
	v_mov_b32_e32 v8, s4
	v_add_co_u32_e32 v0, vcc, s5, v0
	v_addc_co_u32_e32 v1, vcc, v1, v8, vcc
	global_store_dwordx2 v[0:1], v[2:3], off
	v_cvt_f32_f64_e32 v2, v[4:5]
	v_cvt_f32_f64_e32 v3, v[6:7]
	v_mul_f32_e32 v4, v45, v15
	v_mul_f32_e32 v6, v45, v14
	v_fmac_f32_e32 v4, v44, v14
	v_fma_f32 v6, v44, v15, -v6
	v_cvt_f64_f32_e32 v[4:5], v4
	v_cvt_f64_f32_e32 v[6:7], v6
	v_add_co_u32_e32 v0, vcc, s5, v0
	v_addc_co_u32_e32 v1, vcc, v1, v8, vcc
	global_store_dwordx2 v[0:1], v[2:3], off
	v_mul_f64 v[2:3], v[4:5], s[2:3]
	v_mul_f64 v[4:5], v[6:7], s[2:3]
	v_mul_f32_e32 v6, v43, v19
	v_mul_f32_e32 v8, v43, v18
	v_fmac_f32_e32 v6, v42, v18
	v_fma_f32 v8, v42, v19, -v8
	v_cvt_f64_f32_e32 v[6:7], v6
	v_cvt_f64_f32_e32 v[8:9], v8
	v_cvt_f32_f64_e32 v2, v[2:3]
	v_cvt_f32_f64_e32 v3, v[4:5]
	v_mul_f64 v[4:5], v[6:7], s[2:3]
	v_mul_f64 v[6:7], v[8:9], s[2:3]
	v_mov_b32_e32 v8, s4
	v_add_co_u32_e32 v0, vcc, s5, v0
	v_addc_co_u32_e32 v1, vcc, v1, v8, vcc
	global_store_dwordx2 v[0:1], v[2:3], off
	v_cvt_f32_f64_e32 v2, v[4:5]
	v_cvt_f32_f64_e32 v3, v[6:7]
	v_mul_f32_e32 v4, v47, v23
	v_mul_f32_e32 v6, v47, v22
	v_fmac_f32_e32 v4, v46, v22
	v_fma_f32 v6, v46, v23, -v6
	v_cvt_f64_f32_e32 v[4:5], v4
	v_cvt_f64_f32_e32 v[6:7], v6
	v_add_co_u32_e32 v0, vcc, s5, v0
	v_addc_co_u32_e32 v1, vcc, v1, v8, vcc
	global_store_dwordx2 v[0:1], v[2:3], off
	v_mul_f64 v[2:3], v[4:5], s[2:3]
	v_mul_f64 v[4:5], v[6:7], s[2:3]
	v_mul_f32_e32 v6, v41, v27
	v_mul_f32_e32 v8, v41, v26
	v_fmac_f32_e32 v6, v40, v26
	v_fma_f32 v8, v40, v27, -v8
	v_cvt_f64_f32_e32 v[6:7], v6
	v_cvt_f64_f32_e32 v[8:9], v8
	v_cvt_f32_f64_e32 v2, v[2:3]
	v_cvt_f32_f64_e32 v3, v[4:5]
	v_mul_f64 v[4:5], v[6:7], s[2:3]
	v_mul_f64 v[6:7], v[8:9], s[2:3]
	v_mov_b32_e32 v8, s4
	v_add_co_u32_e32 v0, vcc, s5, v0
	v_addc_co_u32_e32 v1, vcc, v1, v8, vcc
	global_store_dwordx2 v[0:1], v[2:3], off
	v_cvt_f32_f64_e32 v2, v[4:5]
	v_cvt_f32_f64_e32 v3, v[6:7]
	v_mov_b32_e32 v4, s4
	v_add_co_u32_e32 v0, vcc, s5, v0
	v_addc_co_u32_e32 v1, vcc, v1, v4, vcc
	global_store_dwordx2 v[0:1], v[2:3], off
.LBB0_2:
	s_endpgm
	.section	.rodata,"a",@progbits
	.p2align	6, 0x0
	.amdhsa_kernel bluestein_single_fwd_len686_dim1_sp_op_CI_CI
		.amdhsa_group_segment_fixed_size 5488
		.amdhsa_private_segment_fixed_size 0
		.amdhsa_kernarg_size 104
		.amdhsa_user_sgpr_count 6
		.amdhsa_user_sgpr_private_segment_buffer 1
		.amdhsa_user_sgpr_dispatch_ptr 0
		.amdhsa_user_sgpr_queue_ptr 0
		.amdhsa_user_sgpr_kernarg_segment_ptr 1
		.amdhsa_user_sgpr_dispatch_id 0
		.amdhsa_user_sgpr_flat_scratch_init 0
		.amdhsa_user_sgpr_private_segment_size 0
		.amdhsa_uses_dynamic_stack 0
		.amdhsa_system_sgpr_private_segment_wavefront_offset 0
		.amdhsa_system_sgpr_workgroup_id_x 1
		.amdhsa_system_sgpr_workgroup_id_y 0
		.amdhsa_system_sgpr_workgroup_id_z 0
		.amdhsa_system_sgpr_workgroup_info 0
		.amdhsa_system_vgpr_workitem_id 0
		.amdhsa_next_free_vgpr 131
		.amdhsa_next_free_sgpr 20
		.amdhsa_reserve_vcc 1
		.amdhsa_reserve_flat_scratch 0
		.amdhsa_float_round_mode_32 0
		.amdhsa_float_round_mode_16_64 0
		.amdhsa_float_denorm_mode_32 3
		.amdhsa_float_denorm_mode_16_64 3
		.amdhsa_dx10_clamp 1
		.amdhsa_ieee_mode 1
		.amdhsa_fp16_overflow 0
		.amdhsa_exception_fp_ieee_invalid_op 0
		.amdhsa_exception_fp_denorm_src 0
		.amdhsa_exception_fp_ieee_div_zero 0
		.amdhsa_exception_fp_ieee_overflow 0
		.amdhsa_exception_fp_ieee_underflow 0
		.amdhsa_exception_fp_ieee_inexact 0
		.amdhsa_exception_int_div_zero 0
	.end_amdhsa_kernel
	.text
.Lfunc_end0:
	.size	bluestein_single_fwd_len686_dim1_sp_op_CI_CI, .Lfunc_end0-bluestein_single_fwd_len686_dim1_sp_op_CI_CI
                                        ; -- End function
	.section	.AMDGPU.csdata,"",@progbits
; Kernel info:
; codeLenInByte = 11320
; NumSgprs: 24
; NumVgprs: 131
; ScratchSize: 0
; MemoryBound: 0
; FloatMode: 240
; IeeeMode: 1
; LDSByteSize: 5488 bytes/workgroup (compile time only)
; SGPRBlocks: 2
; VGPRBlocks: 32
; NumSGPRsForWavesPerEU: 24
; NumVGPRsForWavesPerEU: 131
; Occupancy: 1
; WaveLimiterHint : 1
; COMPUTE_PGM_RSRC2:SCRATCH_EN: 0
; COMPUTE_PGM_RSRC2:USER_SGPR: 6
; COMPUTE_PGM_RSRC2:TRAP_HANDLER: 0
; COMPUTE_PGM_RSRC2:TGID_X_EN: 1
; COMPUTE_PGM_RSRC2:TGID_Y_EN: 0
; COMPUTE_PGM_RSRC2:TGID_Z_EN: 0
; COMPUTE_PGM_RSRC2:TIDIG_COMP_CNT: 0
	.type	__hip_cuid_a358f273bfd9a0c3,@object ; @__hip_cuid_a358f273bfd9a0c3
	.section	.bss,"aw",@nobits
	.globl	__hip_cuid_a358f273bfd9a0c3
__hip_cuid_a358f273bfd9a0c3:
	.byte	0                               ; 0x0
	.size	__hip_cuid_a358f273bfd9a0c3, 1

	.ident	"AMD clang version 19.0.0git (https://github.com/RadeonOpenCompute/llvm-project roc-6.4.0 25133 c7fe45cf4b819c5991fe208aaa96edf142730f1d)"
	.section	".note.GNU-stack","",@progbits
	.addrsig
	.addrsig_sym __hip_cuid_a358f273bfd9a0c3
	.amdgpu_metadata
---
amdhsa.kernels:
  - .args:
      - .actual_access:  read_only
        .address_space:  global
        .offset:         0
        .size:           8
        .value_kind:     global_buffer
      - .actual_access:  read_only
        .address_space:  global
        .offset:         8
        .size:           8
        .value_kind:     global_buffer
      - .actual_access:  read_only
        .address_space:  global
        .offset:         16
        .size:           8
        .value_kind:     global_buffer
      - .actual_access:  read_only
        .address_space:  global
        .offset:         24
        .size:           8
        .value_kind:     global_buffer
      - .actual_access:  read_only
        .address_space:  global
        .offset:         32
        .size:           8
        .value_kind:     global_buffer
      - .offset:         40
        .size:           8
        .value_kind:     by_value
      - .address_space:  global
        .offset:         48
        .size:           8
        .value_kind:     global_buffer
      - .address_space:  global
        .offset:         56
        .size:           8
        .value_kind:     global_buffer
      - .address_space:  global
        .offset:         64
        .size:           8
        .value_kind:     global_buffer
      - .address_space:  global
        .offset:         72
        .size:           8
        .value_kind:     global_buffer
      - .offset:         80
        .size:           4
        .value_kind:     by_value
      - .address_space:  global
        .offset:         88
        .size:           8
        .value_kind:     global_buffer
      - .address_space:  global
        .offset:         96
        .size:           8
        .value_kind:     global_buffer
    .group_segment_fixed_size: 5488
    .kernarg_segment_align: 8
    .kernarg_segment_size: 104
    .language:       OpenCL C
    .language_version:
      - 2
      - 0
    .max_flat_workgroup_size: 49
    .name:           bluestein_single_fwd_len686_dim1_sp_op_CI_CI
    .private_segment_fixed_size: 0
    .sgpr_count:     24
    .sgpr_spill_count: 0
    .symbol:         bluestein_single_fwd_len686_dim1_sp_op_CI_CI.kd
    .uniform_work_group_size: 1
    .uses_dynamic_stack: false
    .vgpr_count:     131
    .vgpr_spill_count: 0
    .wavefront_size: 64
amdhsa.target:   amdgcn-amd-amdhsa--gfx906
amdhsa.version:
  - 1
  - 2
...

	.end_amdgpu_metadata
